;; amdgpu-corpus repo=ROCm/rocFFT kind=compiled arch=gfx1030 opt=O3
	.text
	.amdgcn_target "amdgcn-amd-amdhsa--gfx1030"
	.amdhsa_code_object_version 6
	.protected	fft_rtc_back_len924_factors_2_2_3_7_11_wgs_44_tpt_44_halfLds_dp_ip_CI_unitstride_sbrr_R2C_dirReg ; -- Begin function fft_rtc_back_len924_factors_2_2_3_7_11_wgs_44_tpt_44_halfLds_dp_ip_CI_unitstride_sbrr_R2C_dirReg
	.globl	fft_rtc_back_len924_factors_2_2_3_7_11_wgs_44_tpt_44_halfLds_dp_ip_CI_unitstride_sbrr_R2C_dirReg
	.p2align	8
	.type	fft_rtc_back_len924_factors_2_2_3_7_11_wgs_44_tpt_44_halfLds_dp_ip_CI_unitstride_sbrr_R2C_dirReg,@function
fft_rtc_back_len924_factors_2_2_3_7_11_wgs_44_tpt_44_halfLds_dp_ip_CI_unitstride_sbrr_R2C_dirReg: ; @fft_rtc_back_len924_factors_2_2_3_7_11_wgs_44_tpt_44_halfLds_dp_ip_CI_unitstride_sbrr_R2C_dirReg
; %bb.0:
	s_clause 0x2
	s_load_dwordx4 s[8:11], s[4:5], 0x0
	s_load_dwordx2 s[2:3], s[4:5], 0x50
	s_load_dwordx2 s[12:13], s[4:5], 0x18
	v_mul_u32_u24_e32 v1, 0x5d2, v0
	v_mov_b32_e32 v3, 0
	v_add_nc_u32_sdwa v5, s6, v1 dst_sel:DWORD dst_unused:UNUSED_PAD src0_sel:DWORD src1_sel:WORD_1
	v_mov_b32_e32 v1, 0
	v_mov_b32_e32 v6, v3
	v_mov_b32_e32 v2, 0
	s_waitcnt lgkmcnt(0)
	v_cmp_lt_u64_e64 s0, s[10:11], 2
	s_and_b32 vcc_lo, exec_lo, s0
	s_cbranch_vccnz .LBB0_8
; %bb.1:
	s_load_dwordx2 s[0:1], s[4:5], 0x10
	v_mov_b32_e32 v1, 0
	s_add_u32 s6, s12, 8
	v_mov_b32_e32 v2, 0
	s_addc_u32 s7, s13, 0
	s_mov_b64 s[16:17], 1
	s_waitcnt lgkmcnt(0)
	s_add_u32 s14, s0, 8
	s_addc_u32 s15, s1, 0
.LBB0_2:                                ; =>This Inner Loop Header: Depth=1
	s_load_dwordx2 s[18:19], s[14:15], 0x0
                                        ; implicit-def: $vgpr7_vgpr8
	s_mov_b32 s0, exec_lo
	s_waitcnt lgkmcnt(0)
	v_or_b32_e32 v4, s19, v6
	v_cmpx_ne_u64_e32 0, v[3:4]
	s_xor_b32 s1, exec_lo, s0
	s_cbranch_execz .LBB0_4
; %bb.3:                                ;   in Loop: Header=BB0_2 Depth=1
	v_cvt_f32_u32_e32 v4, s18
	v_cvt_f32_u32_e32 v7, s19
	s_sub_u32 s0, 0, s18
	s_subb_u32 s20, 0, s19
	v_fmac_f32_e32 v4, 0x4f800000, v7
	v_rcp_f32_e32 v4, v4
	v_mul_f32_e32 v4, 0x5f7ffffc, v4
	v_mul_f32_e32 v7, 0x2f800000, v4
	v_trunc_f32_e32 v7, v7
	v_fmac_f32_e32 v4, 0xcf800000, v7
	v_cvt_u32_f32_e32 v7, v7
	v_cvt_u32_f32_e32 v4, v4
	v_mul_lo_u32 v8, s0, v7
	v_mul_hi_u32 v9, s0, v4
	v_mul_lo_u32 v10, s20, v4
	v_add_nc_u32_e32 v8, v9, v8
	v_mul_lo_u32 v9, s0, v4
	v_add_nc_u32_e32 v8, v8, v10
	v_mul_hi_u32 v10, v4, v9
	v_mul_lo_u32 v11, v4, v8
	v_mul_hi_u32 v12, v4, v8
	v_mul_hi_u32 v13, v7, v9
	v_mul_lo_u32 v9, v7, v9
	v_mul_hi_u32 v14, v7, v8
	v_mul_lo_u32 v8, v7, v8
	v_add_co_u32 v10, vcc_lo, v10, v11
	v_add_co_ci_u32_e32 v11, vcc_lo, 0, v12, vcc_lo
	v_add_co_u32 v9, vcc_lo, v10, v9
	v_add_co_ci_u32_e32 v9, vcc_lo, v11, v13, vcc_lo
	v_add_co_ci_u32_e32 v10, vcc_lo, 0, v14, vcc_lo
	v_add_co_u32 v8, vcc_lo, v9, v8
	v_add_co_ci_u32_e32 v9, vcc_lo, 0, v10, vcc_lo
	v_add_co_u32 v4, vcc_lo, v4, v8
	v_add_co_ci_u32_e32 v7, vcc_lo, v7, v9, vcc_lo
	v_mul_hi_u32 v8, s0, v4
	v_mul_lo_u32 v10, s20, v4
	v_mul_lo_u32 v9, s0, v7
	v_add_nc_u32_e32 v8, v8, v9
	v_mul_lo_u32 v9, s0, v4
	v_add_nc_u32_e32 v8, v8, v10
	v_mul_hi_u32 v10, v4, v9
	v_mul_lo_u32 v11, v4, v8
	v_mul_hi_u32 v12, v4, v8
	v_mul_hi_u32 v13, v7, v9
	v_mul_lo_u32 v9, v7, v9
	v_mul_hi_u32 v14, v7, v8
	v_mul_lo_u32 v8, v7, v8
	v_add_co_u32 v10, vcc_lo, v10, v11
	v_add_co_ci_u32_e32 v11, vcc_lo, 0, v12, vcc_lo
	v_add_co_u32 v9, vcc_lo, v10, v9
	v_add_co_ci_u32_e32 v9, vcc_lo, v11, v13, vcc_lo
	v_add_co_ci_u32_e32 v10, vcc_lo, 0, v14, vcc_lo
	v_add_co_u32 v8, vcc_lo, v9, v8
	v_add_co_ci_u32_e32 v9, vcc_lo, 0, v10, vcc_lo
	v_add_co_u32 v4, vcc_lo, v4, v8
	v_add_co_ci_u32_e32 v11, vcc_lo, v7, v9, vcc_lo
	v_mul_hi_u32 v13, v5, v4
	v_mad_u64_u32 v[9:10], null, v6, v4, 0
	v_mad_u64_u32 v[7:8], null, v5, v11, 0
	;; [unrolled: 1-line block ×3, first 2 shown]
	v_add_co_u32 v4, vcc_lo, v13, v7
	v_add_co_ci_u32_e32 v7, vcc_lo, 0, v8, vcc_lo
	v_add_co_u32 v4, vcc_lo, v4, v9
	v_add_co_ci_u32_e32 v4, vcc_lo, v7, v10, vcc_lo
	v_add_co_ci_u32_e32 v7, vcc_lo, 0, v12, vcc_lo
	v_add_co_u32 v4, vcc_lo, v4, v11
	v_add_co_ci_u32_e32 v9, vcc_lo, 0, v7, vcc_lo
	v_mul_lo_u32 v10, s19, v4
	v_mad_u64_u32 v[7:8], null, s18, v4, 0
	v_mul_lo_u32 v11, s18, v9
	v_sub_co_u32 v7, vcc_lo, v5, v7
	v_add3_u32 v8, v8, v11, v10
	v_sub_nc_u32_e32 v10, v6, v8
	v_subrev_co_ci_u32_e64 v10, s0, s19, v10, vcc_lo
	v_add_co_u32 v11, s0, v4, 2
	v_add_co_ci_u32_e64 v12, s0, 0, v9, s0
	v_sub_co_u32 v13, s0, v7, s18
	v_sub_co_ci_u32_e32 v8, vcc_lo, v6, v8, vcc_lo
	v_subrev_co_ci_u32_e64 v10, s0, 0, v10, s0
	v_cmp_le_u32_e32 vcc_lo, s18, v13
	v_cmp_eq_u32_e64 s0, s19, v8
	v_cndmask_b32_e64 v13, 0, -1, vcc_lo
	v_cmp_le_u32_e32 vcc_lo, s19, v10
	v_cndmask_b32_e64 v14, 0, -1, vcc_lo
	v_cmp_le_u32_e32 vcc_lo, s18, v7
	;; [unrolled: 2-line block ×3, first 2 shown]
	v_cndmask_b32_e64 v15, 0, -1, vcc_lo
	v_cmp_eq_u32_e32 vcc_lo, s19, v10
	v_cndmask_b32_e64 v7, v15, v7, s0
	v_cndmask_b32_e32 v10, v14, v13, vcc_lo
	v_add_co_u32 v13, vcc_lo, v4, 1
	v_add_co_ci_u32_e32 v14, vcc_lo, 0, v9, vcc_lo
	v_cmp_ne_u32_e32 vcc_lo, 0, v10
	v_cndmask_b32_e32 v8, v14, v12, vcc_lo
	v_cndmask_b32_e32 v10, v13, v11, vcc_lo
	v_cmp_ne_u32_e32 vcc_lo, 0, v7
	v_cndmask_b32_e32 v8, v9, v8, vcc_lo
	v_cndmask_b32_e32 v7, v4, v10, vcc_lo
.LBB0_4:                                ;   in Loop: Header=BB0_2 Depth=1
	s_andn2_saveexec_b32 s0, s1
	s_cbranch_execz .LBB0_6
; %bb.5:                                ;   in Loop: Header=BB0_2 Depth=1
	v_cvt_f32_u32_e32 v4, s18
	s_sub_i32 s1, 0, s18
	v_rcp_iflag_f32_e32 v4, v4
	v_mul_f32_e32 v4, 0x4f7ffffe, v4
	v_cvt_u32_f32_e32 v4, v4
	v_mul_lo_u32 v7, s1, v4
	v_mul_hi_u32 v7, v4, v7
	v_add_nc_u32_e32 v4, v4, v7
	v_mul_hi_u32 v4, v5, v4
	v_mul_lo_u32 v7, v4, s18
	v_add_nc_u32_e32 v8, 1, v4
	v_sub_nc_u32_e32 v7, v5, v7
	v_subrev_nc_u32_e32 v9, s18, v7
	v_cmp_le_u32_e32 vcc_lo, s18, v7
	v_cndmask_b32_e32 v7, v7, v9, vcc_lo
	v_cndmask_b32_e32 v4, v4, v8, vcc_lo
	v_cmp_le_u32_e32 vcc_lo, s18, v7
	v_add_nc_u32_e32 v8, 1, v4
	v_cndmask_b32_e32 v7, v4, v8, vcc_lo
	v_mov_b32_e32 v8, v3
.LBB0_6:                                ;   in Loop: Header=BB0_2 Depth=1
	s_or_b32 exec_lo, exec_lo, s0
	s_load_dwordx2 s[0:1], s[6:7], 0x0
	v_mul_lo_u32 v4, v8, s18
	v_mul_lo_u32 v11, v7, s19
	v_mad_u64_u32 v[9:10], null, v7, s18, 0
	s_add_u32 s16, s16, 1
	s_addc_u32 s17, s17, 0
	s_add_u32 s6, s6, 8
	s_addc_u32 s7, s7, 0
	;; [unrolled: 2-line block ×3, first 2 shown]
	v_add3_u32 v4, v10, v11, v4
	v_sub_co_u32 v5, vcc_lo, v5, v9
	v_sub_co_ci_u32_e32 v4, vcc_lo, v6, v4, vcc_lo
	s_waitcnt lgkmcnt(0)
	v_mul_lo_u32 v6, s1, v5
	v_mul_lo_u32 v4, s0, v4
	v_mad_u64_u32 v[1:2], null, s0, v5, v[1:2]
	v_cmp_ge_u64_e64 s0, s[16:17], s[10:11]
	s_and_b32 vcc_lo, exec_lo, s0
	v_add3_u32 v2, v6, v2, v4
	s_cbranch_vccnz .LBB0_9
; %bb.7:                                ;   in Loop: Header=BB0_2 Depth=1
	v_mov_b32_e32 v5, v7
	v_mov_b32_e32 v6, v8
	s_branch .LBB0_2
.LBB0_8:
	v_mov_b32_e32 v8, v6
	v_mov_b32_e32 v7, v5
.LBB0_9:
	s_lshl_b64 s[0:1], s[10:11], 3
	v_mul_hi_u32 v3, 0x5d1745e, v0
	s_add_u32 s0, s12, s0
	s_addc_u32 s1, s13, s1
	s_load_dwordx2 s[4:5], s[4:5], 0x20
	s_load_dwordx2 s[0:1], s[0:1], 0x0
	v_mul_u32_u24_e32 v3, 44, v3
	v_sub_nc_u32_e32 v88, v0, v3
	v_add_nc_u32_e32 v95, 44, v88
	v_add_nc_u32_e32 v104, 0x58, v88
	;; [unrolled: 1-line block ×5, first 2 shown]
	s_waitcnt lgkmcnt(0)
	v_cmp_gt_u64_e32 vcc_lo, s[4:5], v[7:8]
	v_mul_lo_u32 v3, s0, v8
	v_mul_lo_u32 v4, s1, v7
	v_mad_u64_u32 v[0:1], null, s0, v7, v[1:2]
	v_cmp_le_u64_e64 s0, s[4:5], v[7:8]
	v_add_nc_u32_e32 v100, 0x108, v88
	v_add_nc_u32_e32 v99, 0x134, v88
	;; [unrolled: 1-line block ×5, first 2 shown]
	v_add3_u32 v1, v4, v1, v3
	s_and_saveexec_b32 s1, s0
	s_xor_b32 s0, exec_lo, s1
; %bb.10:
	v_add_nc_u32_e32 v95, 44, v88
	v_add_nc_u32_e32 v104, 0x58, v88
	;; [unrolled: 1-line block ×10, first 2 shown]
; %bb.11:
	s_or_saveexec_b32 s1, s0
	v_lshlrev_b64 v[92:93], 4, v[0:1]
	v_or_b32_e32 v90, 0x2c0, v88
	s_xor_b32 exec_lo, exec_lo, s1
	s_cbranch_execz .LBB0_13
; %bb.12:
	v_mov_b32_e32 v89, 0
	v_add_co_u32 v38, s0, s2, v92
	v_add_co_ci_u32_e64 v39, s0, s3, v93, s0
	v_lshlrev_b64 v[0:1], 4, v[88:89]
	v_mov_b32_e32 v91, v89
	v_lshl_add_u32 v84, v88, 4, 0
	v_lshlrev_b64 v[36:37], 4, v[90:91]
	v_add_co_u32 v32, s0, v38, v0
	v_add_co_ci_u32_e64 v33, s0, v39, v1, s0
	s_clause 0x1
	global_load_dwordx4 v[0:3], v[32:33], off
	global_load_dwordx4 v[4:7], v[32:33], off offset:704
	v_add_co_u32 v20, s0, 0x800, v32
	v_add_co_ci_u32_e64 v21, s0, 0, v33, s0
	v_add_co_u32 v34, s0, 0x1000, v32
	v_add_co_ci_u32_e64 v35, s0, 0, v33, s0
	;; [unrolled: 2-line block ×7, first 2 shown]
	s_clause 0x12
	global_load_dwordx4 v[8:11], v[32:33], off offset:1408
	global_load_dwordx4 v[12:15], v[20:21], off offset:64
	;; [unrolled: 1-line block ×14, first 2 shown]
	global_load_dwordx4 v[64:67], v[64:65], off
	global_load_dwordx4 v[68:71], v[68:69], off offset:1728
	global_load_dwordx4 v[72:75], v[80:81], off offset:384
	;; [unrolled: 1-line block ×4, first 2 shown]
	s_waitcnt vmcnt(20)
	ds_write_b128 v84, v[0:3]
	s_waitcnt vmcnt(19)
	ds_write_b128 v84, v[4:7] offset:704
	s_waitcnt vmcnt(18)
	ds_write_b128 v84, v[8:11] offset:1408
	;; [unrolled: 2-line block ×20, first 2 shown]
.LBB0_13:
	s_or_b32 exec_lo, exec_lo, s1
	v_lshlrev_b32_e32 v89, 4, v88
	s_waitcnt lgkmcnt(0)
	s_barrier
	buffer_gl0_inv
	v_lshl_add_u32 v96, v104, 5, 0
	v_add_nc_u32_e32 v165, 0, v89
	v_lshl_add_u32 v91, v95, 5, 0
	v_lshl_add_u32 v107, v101, 5, 0
	;; [unrolled: 1-line block ×4, first 2 shown]
	ds_read_b128 v[0:3], v165 offset:7392
	ds_read_b128 v[4:7], v165
	ds_read_b128 v[8:11], v165 offset:704
	ds_read_b128 v[12:15], v165 offset:8096
	;; [unrolled: 1-line block ×18, first 2 shown]
	v_add_nc_u32_e32 v105, v165, v89
	v_lshl_add_u32 v166, v98, 5, 0
	v_cmp_gt_u32_e64 s0, 22, v88
	s_waitcnt lgkmcnt(13)
	v_add_f64 v[20:21], v[24:25], -v[20:21]
	v_add_f64 v[22:23], v[26:27], -v[22:23]
	s_waitcnt lgkmcnt(11)
	v_add_f64 v[32:33], v[28:29], -v[32:33]
	v_add_f64 v[34:35], v[30:31], -v[34:35]
	;; [unrolled: 3-line block ×5, first 2 shown]
	v_add_f64 v[80:81], v[4:5], -v[0:1]
	v_add_f64 v[82:83], v[6:7], -v[2:3]
	;; [unrolled: 1-line block ×4, first 2 shown]
	ds_read_b128 v[0:3], v165 offset:13728
	ds_read_b128 v[84:87], v165 offset:14432
	s_waitcnt lgkmcnt(5)
	v_add_f64 v[64:65], v[60:61], -v[64:65]
	v_add_f64 v[66:67], v[62:63], -v[66:67]
	s_waitcnt lgkmcnt(3)
	v_add_f64 v[68:69], v[72:73], -v[68:69]
	v_add_f64 v[70:71], v[74:75], -v[70:71]
	s_waitcnt lgkmcnt(0)
	s_barrier
	buffer_gl0_inv
	ds_write_b128 v105, v[80:83] offset:16
	ds_write_b128 v91, v[12:15] offset:16
	v_fma_f64 v[4:5], v[4:5], 2.0, -v[80:81]
	v_fma_f64 v[6:7], v[6:7], 2.0, -v[82:83]
	v_add_f64 v[110:111], v[76:77], -v[0:1]
	v_add_f64 v[112:113], v[78:79], -v[2:3]
	v_add_f64 v[0:1], v[16:17], -v[84:85]
	v_add_f64 v[2:3], v[18:19], -v[86:87]
	v_fma_f64 v[8:9], v[8:9], 2.0, -v[12:13]
	v_fma_f64 v[10:11], v[10:11], 2.0, -v[14:15]
	;; [unrolled: 1-line block ×6, first 2 shown]
	ds_write_b128 v96, v[20:23] offset:16
	v_fma_f64 v[20:21], v[44:45], 2.0, -v[48:49]
	v_fma_f64 v[22:23], v[46:47], 2.0, -v[50:51]
	;; [unrolled: 1-line block ×7, first 2 shown]
	ds_write_b128 v105, v[4:7]
	ds_write_b128 v91, v[8:11]
	v_fma_f64 v[8:9], v[72:73], 2.0, -v[68:69]
	v_fma_f64 v[10:11], v[74:75], 2.0, -v[70:71]
	;; [unrolled: 1-line block ×7, first 2 shown]
	v_lshl_add_u32 v60, v103, 5, 0
	v_lshl_add_u32 v16, v102, 5, 0
	;; [unrolled: 1-line block ×3, first 2 shown]
	ds_write_b128 v96, v[12:15]
	ds_write_b128 v60, v[32:35] offset:16
	ds_write_b128 v60, v[24:27]
	ds_write_b128 v16, v[28:31]
	ds_write_b128 v16, v[36:39] offset:16
	ds_write_b128 v107, v[20:23]
	ds_write_b128 v107, v[48:51] offset:16
	;; [unrolled: 2-line block ×6, first 2 shown]
	s_and_saveexec_b32 s1, s0
	s_cbranch_execz .LBB0_15
; %bb.14:
	v_lshl_add_u32 v8, v94, 5, 0
	ds_write_b128 v8, v[4:7]
	ds_write_b128 v8, v[0:3] offset:16
.LBB0_15:
	s_or_b32 exec_lo, exec_lo, s1
	v_lshlrev_b32_e32 v106, 4, v101
	v_lshlrev_b32_e32 v110, 4, v100
	;; [unrolled: 1-line block ×5, first 2 shown]
	v_lshl_add_u32 v169, v104, 4, 0
	v_lshl_add_u32 v167, v102, 4, 0
	;; [unrolled: 1-line block ×3, first 2 shown]
	v_sub_nc_u32_e32 v20, v107, v106
	v_sub_nc_u32_e32 v28, v108, v110
	;; [unrolled: 1-line block ×5, first 2 shown]
	s_waitcnt lgkmcnt(0)
	s_barrier
	buffer_gl0_inv
	ds_read_b128 v[8:11], v165
	ds_read_b128 v[44:47], v165 offset:7392
	v_lshl_add_u32 v170, v95, 4, 0
	ds_read_b128 v[52:55], v165 offset:8096
	ds_read_b128 v[48:51], v165 offset:8800
	ds_read_b128 v[16:19], v169
	ds_read_b128 v[12:15], v168
	ds_read_b128 v[64:67], v165 offset:9504
	ds_read_b128 v[60:63], v165 offset:10208
	ds_read_b128 v[24:27], v167
	ds_read_b128 v[20:23], v20
	;; [unrolled: 4-line block ×3, first 2 shown]
	ds_read_b128 v[32:35], v30
	ds_read_b128 v[28:31], v31
	ds_read_b128 v[84:87], v165 offset:12320
	ds_read_b128 v[76:79], v165 offset:13024
	ds_read_b128 v[56:59], v170
	ds_read_b128 v[80:83], v165 offset:13728
	v_lshlrev_b32_e32 v122, 1, v95
	v_lshlrev_b32_e32 v121, 1, v104
	;; [unrolled: 1-line block ×9, first 2 shown]
	v_lshl_add_u32 v91, v94, 4, 0
	s_and_saveexec_b32 s1, s0
	s_cbranch_execz .LBB0_17
; %bb.16:
	ds_read_b128 v[4:7], v91
	ds_read_b128 v[0:3], v165 offset:14432
.LBB0_17:
	s_or_b32 exec_lo, exec_lo, s1
	v_and_b32_e32 v118, 1, v88
	v_lshlrev_b32_e32 v128, 1, v88
	v_sub_nc_u32_e32 v110, 0, v110
	v_sub_nc_u32_e32 v112, 0, v112
	v_lshlrev_b32_e32 v111, 4, v118
	v_and_or_b32 v116, 0x2fc, v116, v118
	v_and_or_b32 v122, 0xfc, v122, v118
	;; [unrolled: 1-line block ×4, first 2 shown]
	global_load_dwordx4 v[124:127], v111, s[8:9]
	v_and_or_b32 v119, 0x1fc, v119, v118
	v_and_or_b32 v160, 0x2fc, v115, v118
	;; [unrolled: 1-line block ×4, first 2 shown]
	v_lshl_add_u32 v173, v116, 4, 0
	v_lshl_add_u32 v163, v122, 4, 0
	;; [unrolled: 1-line block ×5, first 2 shown]
	v_sub_nc_u32_e32 v111, 0, v106
	v_sub_nc_u32_e32 v106, 0, v123
	v_and_or_b32 v123, 0x7c, v128, v118
	v_and_or_b32 v117, 0x3fc, v117, v118
	s_waitcnt vmcnt(0) lgkmcnt(0)
	s_barrier
	buffer_gl0_inv
	v_lshl_add_u32 v123, v123, 4, 0
	v_lshl_add_u32 v117, v117, 4, 0
	;; [unrolled: 1-line block ×4, first 2 shown]
	v_mul_f64 v[140:141], v[74:75], v[126:127]
	v_mul_f64 v[113:114], v[46:47], v[126:127]
	;; [unrolled: 1-line block ×20, first 2 shown]
	v_fma_f64 v[72:73], v[72:73], v[124:125], v[140:141]
	v_mul_f64 v[140:141], v[2:3], v[126:127]
	v_mul_f64 v[126:127], v[0:1], v[126:127]
	v_fma_f64 v[44:45], v[44:45], v[124:125], v[113:114]
	v_fma_f64 v[46:47], v[46:47], v[124:125], -v[115:116]
	v_fma_f64 v[52:53], v[52:53], v[124:125], v[119:120]
	v_fma_f64 v[54:55], v[54:55], v[124:125], -v[121:122]
	;; [unrolled: 2-line block ×5, first 2 shown]
	v_fma_f64 v[74:75], v[74:75], v[124:125], -v[142:143]
	v_fma_f64 v[128:129], v[68:69], v[124:125], v[144:145]
	v_fma_f64 v[130:131], v[70:71], v[124:125], -v[146:147]
	v_fma_f64 v[84:85], v[84:85], v[124:125], v[148:149]
	;; [unrolled: 2-line block ×4, first 2 shown]
	v_fma_f64 v[138:139], v[82:83], v[124:125], -v[158:159]
	v_add_f64 v[68:69], v[20:21], -v[72:73]
	v_fma_f64 v[0:1], v[0:1], v[124:125], v[140:141]
	v_fma_f64 v[2:3], v[2:3], v[124:125], -v[126:127]
	v_add_f64 v[44:45], v[8:9], -v[44:45]
	v_add_f64 v[46:47], v[10:11], -v[46:47]
	;; [unrolled: 1-line block ×19, first 2 shown]
	v_fma_f64 v[20:21], v[20:21], 2.0, -v[68:69]
	v_add_f64 v[0:1], v[4:5], -v[0:1]
	v_add_f64 v[2:3], v[6:7], -v[2:3]
	v_fma_f64 v[8:9], v[8:9], 2.0, -v[44:45]
	v_fma_f64 v[10:11], v[10:11], 2.0, -v[46:47]
	;; [unrolled: 1-line block ×19, first 2 shown]
	v_lshl_add_u32 v113, v162, 4, 0
	ds_write_b128 v123, v[44:47] offset:32
	ds_write_b128 v123, v[8:11]
	ds_write_b128 v163, v[56:59]
	ds_write_b128 v163, v[48:51] offset:32
	ds_write_b128 v164, v[16:19]
	ds_write_b128 v164, v[52:55] offset:32
	;; [unrolled: 2-line block ×9, first 2 shown]
	s_and_saveexec_b32 s1, s0
	s_cbranch_execz .LBB0_19
; %bb.18:
	v_fma_f64 v[6:7], v[6:7], 2.0, -v[2:3]
	v_fma_f64 v[4:5], v[4:5], 2.0, -v[0:1]
	v_lshlrev_b32_e32 v8, 1, v94
	v_and_or_b32 v8, 0x3fc, v8, v118
	v_lshl_add_u32 v8, v8, 4, 0
	ds_write_b128 v8, v[4:7]
	ds_write_b128 v8, v[0:3] offset:32
.LBB0_19:
	s_or_b32 exec_lo, exec_lo, s1
	v_and_b32_e32 v84, 3, v88
	s_waitcnt lgkmcnt(0)
	s_barrier
	buffer_gl0_inv
	v_add_nc_u32_e32 v171, v109, v112
	v_lshlrev_b32_e32 v4, 5, v84
	v_add_nc_u32_e32 v173, v107, v111
	v_add_nc_u32_e32 v172, v108, v110
	v_lshrrev_b32_e32 v85, 2, v88
	v_lshrrev_b32_e32 v87, 2, v104
	s_clause 0x1
	global_load_dwordx4 v[28:31], v4, s[8:9] offset:32
	global_load_dwordx4 v[24:27], v4, s[8:9] offset:48
	v_and_b32_e32 v124, 0xff, v88
	v_and_b32_e32 v125, 0xff, v95
	ds_read_b128 v[20:23], v165
	ds_read_b128 v[64:67], v165 offset:5632
	ds_read_b128 v[16:19], v170
	ds_read_b128 v[8:11], v169
	ds_read_b128 v[72:75], v165 offset:10560
	ds_read_b128 v[48:51], v165 offset:11264
	;; [unrolled: 1-line block ×4, first 2 shown]
	ds_read_b128 v[12:15], v168
	ds_read_b128 v[4:7], v167
	ds_read_b128 v[56:59], v165 offset:11968
	ds_read_b128 v[32:35], v165 offset:12672
	;; [unrolled: 1-line block ×8, first 2 shown]
	v_lshrrev_b32_e32 v86, 2, v95
	v_lshrrev_b32_e32 v107, 2, v103
	;; [unrolled: 1-line block ×4, first 2 shown]
	ds_read_b128 v[112:115], v171
	ds_read_b128 v[116:119], v173
	;; [unrolled: 1-line block ×3, first 2 shown]
	v_and_b32_e32 v126, 0xff, v104
	v_mul_u32_u24_e32 v85, 12, v85
	v_mul_lo_u32 v127, v87, 12
	v_mul_lo_u16 v87, 0xab, v124
	v_mul_lo_u16 v124, 0xab, v125
	v_mul_lo_u32 v86, v86, 12
	v_mul_lo_u32 v128, v107, 12
	;; [unrolled: 1-line block ×4, first 2 shown]
	v_mul_lo_u16 v125, 0xab, v126
	v_or_b32_e32 v126, v85, v84
	v_lshrrev_b16 v107, 11, v87
	v_lshrrev_b16 v87, 11, v124
	v_or_b32_e32 v86, v86, v84
	v_lshrrev_b16 v85, 11, v125
	v_or_b32_e32 v124, v127, v84
	v_or_b32_e32 v125, v128, v84
	;; [unrolled: 1-line block ×4, first 2 shown]
	v_lshl_add_u32 v164, v126, 4, 0
	v_mul_lo_u16 v126, v87, 12
	v_lshl_add_u32 v189, v86, 4, 0
	v_lshl_add_u32 v190, v124, 4, 0
	v_lshl_add_u32 v191, v125, 4, 0
	v_lshl_add_u32 v192, v108, 4, 0
	v_lshl_add_u32 v193, v109, 4, 0
	v_sub_nc_u16 v86, v95, v126
	v_lshrrev_b32_e32 v111, 2, v100
	s_mov_b32 s4, 0xe8584caa
	s_mov_b32 s5, 0xbfebb67a
	;; [unrolled: 1-line block ×4, first 2 shown]
	v_mul_lo_u32 v111, v111, 12
	v_mov_b32_e32 v110, 6
	s_waitcnt vmcnt(0) lgkmcnt(0)
	s_barrier
	buffer_gl0_inv
	v_mul_lo_u16 v188, v85, 12
	s_mov_b32 s12, 0x37e14327
	s_mov_b32 s13, 0x3fe948f6
	v_or_b32_e32 v111, v111, v84
	v_mul_lo_u16 v84, v107, 12
	s_mov_b32 s18, 0xe976ee23
	s_mov_b32 s10, 0x429ad128
	;; [unrolled: 1-line block ×3, first 2 shown]
	v_lshl_add_u32 v194, v111, 4, 0
	v_sub_nc_u16 v84, v88, v84
	s_mov_b32 s11, 0xbfebfeb5
	s_mov_b32 s14, 0x5476071b
	;; [unrolled: 1-line block ×4, first 2 shown]
	v_mul_u32_u24_sdwa v195, v84, v110 dst_sel:DWORD dst_unused:UNUSED_PAD src0_sel:BYTE_0 src1_sel:DWORD
	s_mov_b32 s17, 0xbfe77f67
	s_mov_b32 s21, 0xbfd5d0dc
	;; [unrolled: 1-line block ×7, first 2 shown]
	v_cmp_gt_u32_e64 s1, 40, v88
	v_mul_f64 v[108:109], v[114:115], v[30:31]
	v_mul_f64 v[124:125], v[112:113], v[30:31]
	;; [unrolled: 1-line block ×28, first 2 shown]
	v_fma_f64 v[108:109], v[112:113], v[28:29], v[108:109]
	v_fma_f64 v[111:112], v[114:115], v[28:29], -v[124:125]
	v_fma_f64 v[80:81], v[80:81], v[24:25], v[126:127]
	v_fma_f64 v[82:83], v[82:83], v[24:25], -v[128:129]
	;; [unrolled: 2-line block ×14, first 2 shown]
	v_add_f64 v[40:41], v[108:109], v[80:81]
	v_add_f64 v[42:43], v[111:112], -v[82:83]
	v_add_f64 v[26:27], v[22:23], v[111:112]
	v_add_f64 v[111:112], v[111:112], v[82:83]
	v_add_f64 v[124:125], v[64:65], v[72:73]
	v_add_f64 v[126:127], v[66:67], -v[74:75]
	v_add_f64 v[128:129], v[18:19], v[66:67]
	v_add_f64 v[66:67], v[66:67], v[74:75]
	;; [unrolled: 4-line block ×3, first 2 shown]
	v_add_f64 v[113:114], v[16:17], v[64:65]
	v_add_f64 v[140:141], v[52:53], v[56:57]
	v_add_f64 v[142:143], v[54:55], -v[58:59]
	v_add_f64 v[144:145], v[14:15], v[54:55]
	v_add_f64 v[54:55], v[54:55], v[58:59]
	;; [unrolled: 1-line block ×3, first 2 shown]
	v_add_f64 v[150:151], v[70:71], -v[34:35]
	v_add_f64 v[152:153], v[6:7], v[70:71]
	v_add_f64 v[70:71], v[70:71], v[34:35]
	;; [unrolled: 1-line block ×7, first 2 shown]
	v_add_f64 v[108:109], v[108:109], -v[80:81]
	v_add_f64 v[138:139], v[12:13], v[52:53]
	v_add_f64 v[146:147], v[52:53], -v[56:57]
	v_add_f64 v[52:53], v[4:5], v[68:69]
	v_add_f64 v[162:163], v[120:121], v[36:37]
	v_add_f64 v[186:187], v[36:37], -v[30:31]
	v_fma_f64 v[36:37], v[40:41], -0.5, v[20:21]
	v_fma_f64 v[40:41], v[111:112], -0.5, v[22:23]
	v_add_f64 v[176:177], v[122:123], v[28:29]
	v_add_f64 v[64:65], v[64:65], -v[72:73]
	v_add_f64 v[154:155], v[68:69], -v[32:33]
	v_add_f64 v[68:69], v[116:117], v[44:45]
	v_add_f64 v[158:159], v[118:119], v[46:47]
	v_add_f64 v[180:181], v[46:47], -v[62:63]
	v_add_f64 v[182:183], v[44:45], -v[60:61]
	v_fma_f64 v[44:45], v[124:125], -0.5, v[16:17]
	v_fma_f64 v[46:47], v[66:67], -0.5, v[18:19]
	v_add_f64 v[130:131], v[8:9], v[76:77]
	v_add_f64 v[76:77], v[76:77], -v[48:49]
	v_add_f64 v[18:19], v[136:137], v[50:51]
	v_fma_f64 v[50:51], v[132:133], -0.5, v[8:9]
	v_fma_f64 v[66:67], v[78:79], -0.5, v[10:11]
	v_add_f64 v[20:21], v[113:114], v[72:73]
	v_add_f64 v[22:23], v[128:129], v[74:75]
	v_fma_f64 v[72:73], v[140:141], -0.5, v[12:13]
	v_fma_f64 v[74:75], v[54:55], -0.5, v[14:15]
	v_fma_f64 v[78:79], v[148:149], -0.5, v[4:5]
	v_fma_f64 v[70:71], v[70:71], -0.5, v[6:7]
	v_add_f64 v[24:25], v[24:25], v[80:81]
	v_add_f64 v[26:27], v[26:27], v[82:83]
	v_fma_f64 v[80:81], v[156:157], -0.5, v[116:117]
	v_fma_f64 v[82:83], v[160:161], -0.5, v[118:119]
	v_add_f64 v[184:185], v[28:29], -v[38:39]
	v_fma_f64 v[111:112], v[174:175], -0.5, v[120:121]
	v_fma_f64 v[113:114], v[178:179], -0.5, v[122:123]
	v_add_f64 v[12:13], v[52:53], v[32:33]
	v_add_f64 v[14:15], v[152:153], v[34:35]
	v_fma_f64 v[32:33], v[42:43], s[4:5], v[36:37]
	v_fma_f64 v[34:35], v[108:109], s[6:7], v[40:41]
	v_add_f64 v[28:29], v[162:163], v[30:31]
	v_add_f64 v[30:31], v[176:177], v[38:39]
	v_fma_f64 v[36:37], v[42:43], s[6:7], v[36:37]
	v_fma_f64 v[38:39], v[108:109], s[4:5], v[40:41]
	;; [unrolled: 1-line block ×6, first 2 shown]
	v_add_f64 v[16:17], v[130:131], v[48:49]
	v_fma_f64 v[48:49], v[134:135], s[4:5], v[50:51]
	v_fma_f64 v[52:53], v[134:135], s[6:7], v[50:51]
	;; [unrolled: 1-line block ×4, first 2 shown]
	v_add_f64 v[8:9], v[138:139], v[56:57]
	v_add_f64 v[10:11], v[144:145], v[58:59]
	v_fma_f64 v[56:57], v[142:143], s[4:5], v[72:73]
	v_fma_f64 v[58:59], v[146:147], s[6:7], v[74:75]
	v_add_f64 v[4:5], v[68:69], v[60:61]
	v_add_f64 v[6:7], v[158:159], v[62:63]
	v_fma_f64 v[60:61], v[142:143], s[6:7], v[72:73]
	v_fma_f64 v[62:63], v[146:147], s[4:5], v[74:75]
	;; [unrolled: 1-line block ×10, first 2 shown]
	v_lshlrev_b32_e32 v108, 4, v195
	v_fma_f64 v[80:81], v[184:185], s[4:5], v[111:112]
	v_fma_f64 v[82:83], v[186:187], s[6:7], v[113:114]
	v_fma_f64 v[111:112], v[184:185], s[6:7], v[111:112]
	v_fma_f64 v[113:114], v[186:187], s[4:5], v[113:114]
	ds_write_b128 v164, v[24:27]
	ds_write_b128 v164, v[32:35] offset:64
	ds_write_b128 v164, v[36:39] offset:128
	ds_write_b128 v189, v[20:23]
	ds_write_b128 v189, v[40:43] offset:64
	ds_write_b128 v189, v[44:47] offset:128
	;; [unrolled: 3-line block ×7, first 2 shown]
	s_waitcnt lgkmcnt(0)
	s_barrier
	buffer_gl0_inv
	global_load_dwordx4 v[48:51], v108, s[8:9] offset:160
	v_mul_u32_u24_sdwa v4, v86, v110 dst_sel:DWORD dst_unused:UNUSED_PAD src0_sel:BYTE_0 src1_sel:DWORD
	s_clause 0x1
	global_load_dwordx4 v[44:47], v108, s[8:9] offset:176
	global_load_dwordx4 v[36:39], v108, s[8:9] offset:192
	v_sub_nc_u16 v76, v104, v188
	global_load_dwordx4 v[32:35], v108, s[8:9] offset:208
	v_mov_b32_e32 v77, 0x540
	v_lshlrev_b32_e32 v8, 4, v4
	s_clause 0x2
	global_load_dwordx4 v[40:43], v108, s[8:9] offset:224
	global_load_dwordx4 v[24:27], v108, s[8:9] offset:240
	;; [unrolled: 1-line block ×3, first 2 shown]
	v_mul_u32_u24_sdwa v9, v76, v110 dst_sel:DWORD dst_unused:UNUSED_PAD src0_sel:BYTE_0 src1_sel:DWORD
	s_clause 0x2
	global_load_dwordx4 v[28:31], v8, s[8:9] offset:176
	global_load_dwordx4 v[12:15], v8, s[8:9] offset:192
	;; [unrolled: 1-line block ×3, first 2 shown]
	v_mov_b32_e32 v78, 4
	v_mul_u32_u24_sdwa v79, v107, v77 dst_sel:DWORD dst_unused:UNUSED_PAD src0_sel:WORD_0 src1_sel:DWORD
	v_mul_u32_u24_sdwa v80, v87, v77 dst_sel:DWORD dst_unused:UNUSED_PAD src0_sel:WORD_0 src1_sel:DWORD
	v_lshlrev_b32_e32 v68, 4, v9
	s_clause 0x7
	global_load_dwordx4 v[20:23], v8, s[8:9] offset:224
	global_load_dwordx4 v[8:11], v8, s[8:9] offset:240
	;; [unrolled: 1-line block ×8, first 2 shown]
	v_mul_u32_u24_sdwa v77, v85, v77 dst_sel:DWORD dst_unused:UNUSED_PAD src0_sel:WORD_0 src1_sel:DWORD
	v_lshlrev_b32_sdwa v81, v78, v84 dst_sel:DWORD dst_unused:UNUSED_PAD src0_sel:DWORD src1_sel:BYTE_0
	v_lshlrev_b32_sdwa v82, v78, v86 dst_sel:DWORD dst_unused:UNUSED_PAD src0_sel:DWORD src1_sel:BYTE_0
	;; [unrolled: 1-line block ×3, first 2 shown]
	v_add_nc_u32_e32 v174, v105, v106
	s_mov_b32 s4, 0x36b3c0b5
	v_add3_u32 v223, 0, v79, v81
	v_add3_u32 v224, 0, v80, v82
	;; [unrolled: 1-line block ×3, first 2 shown]
	ds_read_b128 v[76:79], v168
	ds_read_b128 v[80:83], v172
	;; [unrolled: 1-line block ×3, first 2 shown]
	ds_read_b128 v[105:108], v165 offset:8448
	ds_read_b128 v[109:112], v165 offset:7744
	ds_read_b128 v[113:116], v165 offset:10560
	ds_read_b128 v[117:120], v165 offset:11264
	ds_read_b128 v[121:124], v165 offset:12672
	ds_read_b128 v[125:128], v165 offset:11968
	ds_read_b128 v[129:132], v165 offset:2816
	ds_read_b128 v[133:136], v165
	ds_read_b128 v[137:140], v165 offset:4928
	ds_read_b128 v[141:144], v165 offset:3520
	;; [unrolled: 1-line block ×8, first 2 shown]
	ds_read_b128 v[179:182], v170
	ds_read_b128 v[183:186], v169
	s_mov_b32 s5, 0x3fac98ee
	s_mov_b32 s6, 0xaaaaaaaa
	s_mov_b32 s7, 0xbff2aaaa
	s_waitcnt vmcnt(0) lgkmcnt(0)
	s_barrier
	buffer_gl0_inv
	v_mul_f64 v[187:188], v[78:79], v[50:51]
	v_mul_f64 v[50:51], v[76:77], v[50:51]
	;; [unrolled: 1-line block ×35, first 2 shown]
	v_fma_f64 v[76:77], v[76:77], v[48:49], v[187:188]
	v_fma_f64 v[48:49], v[78:79], v[48:49], -v[50:51]
	v_mul_f64 v[50:51], v[175:176], v[70:71]
	v_fma_f64 v[70:71], v[80:81], v[44:45], v[189:190]
	v_fma_f64 v[44:45], v[82:83], v[44:45], -v[46:47]
	v_fma_f64 v[46:47], v[84:85], v[36:37], v[191:192]
	v_fma_f64 v[36:37], v[86:87], v[36:37], -v[38:39]
	;; [unrolled: 2-line block ×17, first 2 shown]
	v_add_f64 v[68:69], v[76:77], v[42:43]
	v_add_f64 v[78:79], v[48:49], v[24:25]
	v_add_f64 v[42:43], v[76:77], -v[42:43]
	v_add_f64 v[24:25], v[48:49], -v[24:25]
	v_add_f64 v[48:49], v[70:71], v[34:35]
	v_add_f64 v[76:77], v[44:45], v[40:41]
	v_add_f64 v[34:35], v[70:71], -v[34:35]
	v_add_f64 v[40:41], v[44:45], -v[40:41]
	;; [unrolled: 4-line block ×11, first 2 shown]
	v_add_f64 v[48:49], v[44:45], -v[48:49]
	v_add_f64 v[76:77], v[70:71], -v[76:77]
	v_add_f64 v[84:85], v[38:39], v[34:35]
	v_add_f64 v[86:87], v[32:33], v[40:41]
	v_add_f64 v[105:106], v[38:39], -v[34:35]
	v_add_f64 v[107:108], v[32:33], -v[40:41]
	;; [unrolled: 1-line block ×5, first 2 shown]
	v_add_f64 v[119:120], v[4:5], v[18:19]
	v_add_f64 v[125:126], v[64:65], v[12:13]
	v_add_f64 v[127:128], v[74:75], v[30:31]
	v_add_f64 v[40:41], v[40:41], -v[24:25]
	v_add_f64 v[115:116], v[26:27], -v[46:47]
	;; [unrolled: 1-line block ×4, first 2 shown]
	v_add_f64 v[117:118], v[14:15], v[6:7]
	v_add_f64 v[121:122], v[14:15], -v[6:7]
	v_add_f64 v[123:124], v[4:5], -v[18:19]
	;; [unrolled: 1-line block ×4, first 2 shown]
	v_add_f64 v[56:57], v[44:45], v[56:57]
	v_add_f64 v[62:63], v[70:71], v[62:63]
	v_add_f64 v[26:27], v[28:29], -v[26:27]
	v_add_f64 v[137:138], v[58:59], v[54:55]
	v_add_f64 v[139:140], v[52:53], v[60:61]
	v_mul_f64 v[68:69], v[68:69], s[12:13]
	v_add_f64 v[20:21], v[20:21], v[109:110]
	v_add_f64 v[28:29], v[28:29], v[111:112]
	v_add_f64 v[38:39], v[42:43], -v[38:39]
	v_add_f64 v[32:33], v[24:25], -v[32:33]
	;; [unrolled: 1-line block ×12, first 2 shown]
	v_add_f64 v[42:43], v[84:85], v[42:43]
	v_add_f64 v[24:25], v[86:87], v[24:25]
	v_mul_f64 v[70:71], v[78:79], s[12:13]
	v_mul_f64 v[78:79], v[48:49], s[4:5]
	;; [unrolled: 1-line block ×6, first 2 shown]
	v_add_f64 v[111:112], v[119:120], v[8:9]
	v_mul_f64 v[8:9], v[36:37], s[12:13]
	v_add_f64 v[66:67], v[66:67], v[125:126]
	v_add_f64 v[72:73], v[72:73], v[127:128]
	v_add_f64 v[60:61], v[60:61], -v[50:51]
	v_add_f64 v[14:15], v[22:23], -v[14:15]
	v_mul_f64 v[109:110], v[40:41], s[10:11]
	v_add_f64 v[22:23], v[117:118], v[22:23]
	v_mul_f64 v[36:37], v[46:47], s[12:13]
	v_mul_f64 v[117:118], v[16:17], s[4:5]
	;; [unrolled: 1-line block ×6, first 2 shown]
	v_add_f64 v[44:45], v[133:134], v[56:57]
	v_add_f64 v[46:47], v[135:136], v[62:63]
	v_add_f64 v[52:53], v[50:51], -v[52:53]
	v_add_f64 v[127:128], v[137:138], v[10:11]
	v_add_f64 v[137:138], v[139:140], v[50:51]
	v_fma_f64 v[133:134], v[48:49], s[4:5], v[68:69]
	v_add_f64 v[48:49], v[179:180], v[20:21]
	v_add_f64 v[50:51], v[181:182], v[28:29]
	v_mul_f64 v[119:120], v[26:27], s[4:5]
	v_add_f64 v[58:59], v[10:11], -v[58:59]
	v_mul_f64 v[12:13], v[12:13], s[12:13]
	v_mul_f64 v[30:31], v[30:31], s[12:13]
	;; [unrolled: 1-line block ×5, first 2 shown]
	v_fma_f64 v[78:79], v[80:81], s[14:15], -v[78:79]
	v_fma_f64 v[68:69], v[80:81], s[16:17], -v[68:69]
	v_fma_f64 v[76:77], v[76:77], s[4:5], v[70:71]
	v_fma_f64 v[80:81], v[82:83], s[14:15], -v[84:85]
	v_fma_f64 v[70:71], v[82:83], s[16:17], -v[70:71]
	v_fma_f64 v[82:83], v[38:39], s[20:21], v[86:87]
	v_fma_f64 v[38:39], v[38:39], s[24:25], -v[107:108]
	v_fma_f64 v[16:17], v[16:17], s[4:5], v[8:9]
	v_fma_f64 v[107:108], v[113:114], s[16:17], -v[8:9]
	v_add_f64 v[8:9], v[183:184], v[66:67]
	v_add_f64 v[10:11], v[185:186], v[72:73]
	v_mul_f64 v[139:140], v[64:65], s[4:5]
	v_mul_f64 v[147:148], v[74:75], s[4:5]
	;; [unrolled: 1-line block ×3, first 2 shown]
	v_fma_f64 v[34:35], v[34:35], s[10:11], -v[86:87]
	v_fma_f64 v[84:85], v[32:33], s[20:21], v[105:106]
	v_fma_f64 v[40:41], v[40:41], s[10:11], -v[105:106]
	v_fma_f64 v[32:33], v[32:33], s[24:25], -v[109:110]
	;; [unrolled: 1-line block ×3, first 2 shown]
	v_fma_f64 v[109:110], v[14:15], s[20:21], v[121:122]
	v_fma_f64 v[113:114], v[4:5], s[20:21], v[123:124]
	v_fma_f64 v[6:7], v[6:7], s[10:11], -v[121:122]
	v_fma_f64 v[14:15], v[14:15], s[24:25], -v[145:146]
	;; [unrolled: 1-line block ×3, first 2 shown]
	v_fma_f64 v[56:57], v[56:57], s[6:7], v[44:45]
	v_fma_f64 v[62:63], v[62:63], s[6:7], v[46:47]
	v_fma_f64 v[26:27], v[26:27], s[4:5], v[36:37]
	v_fma_f64 v[20:21], v[20:21], s[6:7], v[48:49]
	v_fma_f64 v[28:29], v[28:29], s[6:7], v[50:51]
	v_fma_f64 v[105:106], v[115:116], s[14:15], -v[119:120]
	v_fma_f64 v[36:37], v[115:116], s[16:17], -v[36:37]
	;; [unrolled: 1-line block ×3, first 2 shown]
	v_fma_f64 v[64:65], v[64:65], s[4:5], v[12:13]
	v_fma_f64 v[74:75], v[74:75], s[4:5], v[30:31]
	;; [unrolled: 1-line block ×4, first 2 shown]
	v_fma_f64 v[54:55], v[54:55], s[10:11], -v[141:142]
	v_fma_f64 v[58:59], v[58:59], s[24:25], -v[149:150]
	v_fma_f64 v[66:67], v[66:67], s[6:7], v[8:9]
	v_fma_f64 v[72:73], v[72:73], s[6:7], v[10:11]
	v_fma_f64 v[115:116], v[129:130], s[14:15], -v[139:140]
	v_fma_f64 v[117:118], v[131:132], s[14:15], -v[147:148]
	;; [unrolled: 1-line block ×6, first 2 shown]
	v_fma_f64 v[82:83], v[42:43], s[22:23], v[82:83]
	v_fma_f64 v[84:85], v[24:25], s[22:23], v[84:85]
	;; [unrolled: 1-line block ×8, first 2 shown]
	v_add_f64 v[4:5], v[133:134], v[56:57]
	v_add_f64 v[76:77], v[76:77], v[62:63]
	v_fma_f64 v[38:39], v[42:43], s[22:23], v[38:39]
	v_add_f64 v[68:69], v[68:69], v[56:57]
	v_add_f64 v[70:71], v[70:71], v[62:63]
	v_fma_f64 v[34:35], v[42:43], s[22:23], v[34:35]
	;; [unrolled: 3-line block ×3, first 2 shown]
	v_add_f64 v[16:17], v[16:17], v[20:21]
	v_add_f64 v[26:27], v[26:27], v[28:29]
	;; [unrolled: 1-line block ×6, first 2 shown]
	v_fma_f64 v[18:19], v[111:112], s[22:23], v[18:19]
	v_fma_f64 v[109:110], v[127:128], s[22:23], v[119:120]
	;; [unrolled: 1-line block ×5, first 2 shown]
	v_add_f64 v[107:108], v[64:65], v[66:67]
	v_add_f64 v[127:128], v[74:75], v[72:73]
	v_fma_f64 v[123:124], v[137:138], s[22:23], v[52:53]
	v_add_f64 v[36:37], v[115:116], v[66:67]
	v_add_f64 v[115:116], v[117:118], v[72:73]
	;; [unrolled: 1-line block ×4, first 2 shown]
	v_fma_f64 v[119:120], v[137:138], s[22:23], v[60:61]
	v_add_f64 v[52:53], v[84:85], v[4:5]
	v_add_f64 v[54:55], v[76:77], -v[82:83]
	v_add_f64 v[56:57], v[24:25], v[68:69]
	v_add_f64 v[58:59], v[70:71], -v[38:39]
	v_add_f64 v[60:61], v[78:79], -v[40:41]
	v_add_f64 v[62:63], v[34:35], v[80:81]
	v_add_f64 v[64:65], v[40:41], v[78:79]
	v_add_f64 v[66:67], v[80:81], -v[34:35]
	v_add_f64 v[68:69], v[68:69], -v[24:25]
	v_add_f64 v[70:71], v[38:39], v[70:71]
	v_add_f64 v[72:73], v[4:5], -v[84:85]
	v_add_f64 v[74:75], v[82:83], v[76:77]
	v_add_f64 v[76:77], v[42:43], v[16:17]
	v_add_f64 v[78:79], v[26:27], -v[32:33]
	v_add_f64 v[80:81], v[22:23], v[20:21]
	v_add_f64 v[82:83], v[28:29], -v[14:15]
	v_add_f64 v[84:85], v[125:126], -v[18:19]
	v_add_f64 v[86:87], v[6:7], v[105:106]
	v_add_f64 v[4:5], v[18:19], v[125:126]
	v_add_f64 v[6:7], v[105:106], -v[6:7]
	v_add_f64 v[12:13], v[20:21], -v[22:23]
	v_add_f64 v[14:15], v[14:15], v[28:29]
	v_add_f64 v[16:17], v[16:17], -v[42:43]
	v_add_f64 v[18:19], v[32:33], v[26:27]
	v_add_f64 v[20:21], v[111:112], v[107:108]
	v_add_f64 v[22:23], v[127:128], -v[109:110]
	v_add_f64 v[24:25], v[123:124], v[117:118]
	v_add_f64 v[26:27], v[129:130], -v[121:122]
	v_add_f64 v[28:29], v[36:37], -v[119:120]
	v_add_f64 v[30:31], v[113:114], v[115:116]
	v_add_f64 v[32:33], v[119:120], v[36:37]
	v_add_f64 v[34:35], v[115:116], -v[113:114]
	v_add_f64 v[36:37], v[117:118], -v[123:124]
	v_add_f64 v[38:39], v[121:122], v[129:130]
	v_add_f64 v[40:41], v[107:108], -v[111:112]
	v_add_f64 v[42:43], v[109:110], v[127:128]
	ds_write_b128 v223, v[44:47]
	ds_write_b128 v223, v[52:55] offset:192
	ds_write_b128 v223, v[56:59] offset:384
	ds_write_b128 v223, v[60:63] offset:576
	ds_write_b128 v223, v[64:67] offset:768
	ds_write_b128 v223, v[68:71] offset:960
	ds_write_b128 v223, v[72:75] offset:1152
	ds_write_b128 v224, v[48:51]
	ds_write_b128 v224, v[76:79] offset:192
	ds_write_b128 v224, v[80:83] offset:384
	ds_write_b128 v224, v[84:87] offset:576
	ds_write_b128 v224, v[4:7] offset:768
	ds_write_b128 v224, v[12:15] offset:960
	ds_write_b128 v224, v[16:19] offset:1152
	;; [unrolled: 7-line block ×3, first 2 shown]
	s_waitcnt lgkmcnt(0)
	s_barrier
	buffer_gl0_inv
	ds_read_b128 v[44:47], v165
	ds_read_b128 v[84:87], v165 offset:1344
	ds_read_b128 v[80:83], v165 offset:2688
	;; [unrolled: 1-line block ×10, first 2 shown]
	s_and_saveexec_b32 s4, s1
	s_cbranch_execz .LBB0_21
; %bb.20:
	ds_read_b128 v[4:7], v170
	ds_read_b128 v[12:15], v165 offset:2048
	ds_read_b128 v[16:19], v165 offset:3392
	;; [unrolled: 1-line block ×10, first 2 shown]
.LBB0_21:
	s_or_b32 exec_lo, exec_lo, s4
	v_mul_u32_u24_e32 v105, 10, v88
	s_mov_b32 s18, 0xf8bb580b
	s_mov_b32 s22, 0x8eee2c13
	;; [unrolled: 1-line block ×4, first 2 shown]
	v_lshlrev_b32_e32 v115, 4, v105
	s_mov_b32 s28, 0xfd768dbf
	s_mov_b32 s19, 0xbfe14ced
	;; [unrolled: 1-line block ×4, first 2 shown]
	s_clause 0x1
	global_load_dwordx4 v[105:108], v115, s[8:9] offset:1312
	global_load_dwordx4 v[109:112], v115, s[8:9] offset:1328
	s_mov_b32 s21, 0xbfe82f19
	s_mov_b32 s29, 0xbfd207e7
	;; [unrolled: 1-line block ×22, first 2 shown]
	s_waitcnt vmcnt(1) lgkmcnt(9)
	v_mul_f64 v[113:114], v[86:87], v[107:108]
	v_mul_f64 v[107:108], v[84:85], v[107:108]
	v_fma_f64 v[84:85], v[84:85], v[105:106], v[113:114]
	v_fma_f64 v[86:87], v[86:87], v[105:106], -v[107:108]
	global_load_dwordx4 v[105:108], v115, s[8:9] offset:1344
	s_waitcnt vmcnt(1) lgkmcnt(8)
	v_mul_f64 v[113:114], v[82:83], v[111:112]
	v_mul_f64 v[111:112], v[80:81], v[111:112]
	v_fma_f64 v[80:81], v[80:81], v[109:110], v[113:114]
	v_fma_f64 v[82:83], v[82:83], v[109:110], -v[111:112]
	global_load_dwordx4 v[109:112], v115, s[8:9] offset:1360
	;; [unrolled: 6-line block ×6, first 2 shown]
	v_add_f64 v[191:192], v[68:69], v[64:65]
	v_add_f64 v[189:190], v[70:71], -v[66:67]
	v_add_f64 v[195:196], v[70:71], v[66:67]
	v_add_f64 v[197:198], v[68:69], -v[64:65]
	v_mul_f64 v[193:194], v[189:190], s[28:29]
	v_mul_f64 v[199:200], v[195:196], s[12:13]
	s_waitcnt vmcnt(1) lgkmcnt(3)
	v_mul_f64 v[113:114], v[62:63], v[107:108]
	v_mul_f64 v[107:108], v[60:61], v[107:108]
	v_fma_f64 v[60:61], v[60:61], v[105:106], v[113:114]
	v_fma_f64 v[62:63], v[62:63], v[105:106], -v[107:108]
	global_load_dwordx4 v[105:108], v115, s[8:9] offset:1456
	s_waitcnt vmcnt(1) lgkmcnt(2)
	v_mul_f64 v[113:114], v[58:59], v[111:112]
	v_mul_f64 v[111:112], v[56:57], v[111:112]
	v_add_f64 v[183:184], v[74:75], -v[62:63]
	v_add_f64 v[185:186], v[74:75], v[62:63]
	v_fma_f64 v[56:57], v[56:57], v[109:110], v[113:114]
	v_fma_f64 v[58:59], v[58:59], v[109:110], -v[111:112]
	global_load_dwordx4 v[109:112], v115, s[8:9] offset:1440
	s_waitcnt vmcnt(0) lgkmcnt(0)
	s_barrier
	buffer_gl0_inv
	v_mul_f64 v[113:114], v[52:53], v[107:108]
	v_mul_f64 v[107:108], v[54:55], v[107:108]
	v_fma_f64 v[54:55], v[54:55], v[105:106], -v[113:114]
	v_fma_f64 v[52:53], v[52:53], v[105:106], v[107:108]
	v_mul_f64 v[105:106], v[50:51], v[111:112]
	v_mul_f64 v[107:108], v[48:49], v[111:112]
	v_add_f64 v[111:112], v[86:87], -v[54:55]
	v_add_f64 v[135:136], v[84:85], -v[52:53]
	v_fma_f64 v[48:49], v[48:49], v[109:110], v[105:106]
	v_fma_f64 v[50:51], v[50:51], v[109:110], -v[107:108]
	v_add_f64 v[105:106], v[84:85], v[52:53]
	v_mul_f64 v[107:108], v[111:112], s[18:19]
	v_mul_f64 v[109:110], v[111:112], s[22:23]
	;; [unrolled: 1-line block ×5, first 2 shown]
	v_fma_f64 v[117:118], v[105:106], s[10:11], v[107:108]
	v_fma_f64 v[107:108], v[105:106], s[10:11], -v[107:108]
	v_fma_f64 v[119:120], v[105:106], s[6:7], v[109:110]
	v_fma_f64 v[121:122], v[105:106], s[6:7], -v[109:110]
	;; [unrolled: 2-line block ×5, first 2 shown]
	v_add_f64 v[105:106], v[86:87], v[54:55]
	v_add_f64 v[117:118], v[44:45], v[117:118]
	;; [unrolled: 1-line block ×6, first 2 shown]
	v_mul_f64 v[109:110], v[105:106], s[10:11]
	v_mul_f64 v[111:112], v[105:106], s[6:7]
	;; [unrolled: 1-line block ×5, first 2 shown]
	v_fma_f64 v[137:138], v[135:136], s[30:31], v[109:110]
	v_fma_f64 v[139:140], v[135:136], s[18:19], v[109:110]
	;; [unrolled: 1-line block ×10, first 2 shown]
	v_add_f64 v[109:110], v[44:45], v[84:85]
	v_add_f64 v[111:112], v[46:47], v[86:87]
	;; [unrolled: 1-line block ×14, first 2 shown]
	v_add_f64 v[135:136], v[82:83], -v[50:51]
	v_add_f64 v[127:128], v[44:45], v[133:134]
	v_add_f64 v[44:45], v[80:81], v[48:49]
	;; [unrolled: 1-line block ×5, first 2 shown]
	v_add_f64 v[161:162], v[78:79], -v[58:59]
	v_add_f64 v[82:83], v[111:112], v[82:83]
	v_mul_f64 v[113:114], v[135:136], s[22:23]
	v_mul_f64 v[115:116], v[137:138], s[6:7]
	;; [unrolled: 1-line block ×3, first 2 shown]
	v_fma_f64 v[46:47], v[44:45], s[6:7], v[113:114]
	v_add_f64 v[121:122], v[46:47], v[117:118]
	v_add_f64 v[46:47], v[80:81], -v[48:49]
	v_add_f64 v[80:81], v[109:110], v[80:81]
	v_fma_f64 v[117:118], v[46:47], s[24:25], v[115:116]
	v_add_f64 v[133:134], v[117:118], v[163:164]
	v_add_f64 v[117:118], v[76:77], v[56:57]
	;; [unrolled: 1-line block ×4, first 2 shown]
	v_fma_f64 v[123:124], v[117:118], s[4:5], v[119:120]
	v_add_f64 v[74:75], v[78:79], v[74:75]
	v_add_f64 v[145:146], v[123:124], v[121:122]
	v_add_f64 v[121:122], v[76:77], -v[56:57]
	v_mul_f64 v[123:124], v[163:164], s[4:5]
	v_add_f64 v[76:77], v[80:81], v[76:77]
	v_add_f64 v[70:71], v[74:75], v[70:71]
	v_fma_f64 v[74:75], v[117:118], s[4:5], -v[119:120]
	v_fma_f64 v[143:144], v[121:122], s[34:35], v[123:124]
	v_fma_f64 v[78:79], v[121:122], s[16:17], v[123:124]
	v_add_f64 v[66:67], v[70:71], v[66:67]
	v_add_f64 v[175:176], v[143:144], v[133:134]
	;; [unrolled: 1-line block ×3, first 2 shown]
	v_mul_f64 v[143:144], v[183:184], s[20:21]
	v_add_f64 v[62:63], v[66:67], v[62:63]
	v_fma_f64 v[147:148], v[133:134], s[14:15], v[143:144]
	v_add_f64 v[58:59], v[62:63], v[58:59]
	v_fma_f64 v[66:67], v[133:134], s[14:15], -v[143:144]
	v_fma_f64 v[62:63], v[191:192], s[12:13], -v[193:194]
	v_add_f64 v[177:178], v[147:148], v[145:146]
	v_add_f64 v[145:146], v[72:73], -v[60:61]
	v_mul_f64 v[147:148], v[185:186], s[14:15]
	v_add_f64 v[72:73], v[76:77], v[72:73]
	v_add_f64 v[50:51], v[58:59], v[50:51]
	v_fma_f64 v[187:188], v[145:146], s[36:37], v[147:148]
	v_add_f64 v[68:69], v[72:73], v[68:69]
	v_fma_f64 v[82:83], v[145:146], s[20:21], v[147:148]
	v_add_f64 v[54:55], v[50:51], v[54:55]
	v_add_f64 v[187:188], v[187:188], v[175:176]
	v_fma_f64 v[175:176], v[191:192], s[12:13], v[193:194]
	v_add_f64 v[64:65], v[68:69], v[64:65]
	;; [unrolled: 3-line block ×3, first 2 shown]
	v_add_f64 v[177:178], v[177:178], v[187:188]
	v_mul_f64 v[187:188], v[135:136], s[20:21]
	v_add_f64 v[56:57], v[60:61], v[56:57]
	v_fma_f64 v[201:202], v[44:45], s[14:15], v[187:188]
	v_fma_f64 v[187:188], v[44:45], s[14:15], -v[187:188]
	v_add_f64 v[56:57], v[56:57], v[48:49]
	v_add_f64 v[179:180], v[201:202], v[179:180]
	v_mul_f64 v[201:202], v[137:138], s[14:15]
	v_add_f64 v[159:160], v[187:188], v[159:160]
	v_add_f64 v[52:53], v[56:57], v[52:53]
	v_fma_f64 v[203:204], v[46:47], s[36:37], v[201:202]
	v_fma_f64 v[187:188], v[46:47], s[20:21], v[201:202]
	v_add_f64 v[181:182], v[203:204], v[181:182]
	v_mul_f64 v[203:204], v[161:162], s[26:27]
	v_add_f64 v[157:158], v[187:188], v[157:158]
	v_fma_f64 v[205:206], v[117:118], s[12:13], v[203:204]
	v_fma_f64 v[187:188], v[117:118], s[12:13], -v[203:204]
	v_add_f64 v[179:180], v[205:206], v[179:180]
	v_mul_f64 v[205:206], v[163:164], s[12:13]
	v_add_f64 v[159:160], v[187:188], v[159:160]
	v_fma_f64 v[207:208], v[121:122], s[28:29], v[205:206]
	v_fma_f64 v[187:188], v[121:122], s[26:27], v[205:206]
	v_add_f64 v[181:182], v[207:208], v[181:182]
	v_mul_f64 v[207:208], v[183:184], s[34:35]
	v_add_f64 v[157:158], v[187:188], v[157:158]
	v_fma_f64 v[209:210], v[133:134], s[4:5], v[207:208]
	v_fma_f64 v[187:188], v[133:134], s[4:5], -v[207:208]
	v_add_f64 v[179:180], v[209:210], v[179:180]
	v_mul_f64 v[209:210], v[185:186], s[4:5]
	;; [unrolled: 10-line block ×3, first 2 shown]
	v_add_f64 v[157:158], v[157:158], v[159:160]
	v_fma_f64 v[201:202], v[197:198], s[30:31], v[213:214]
	v_fma_f64 v[215:216], v[197:198], s[18:19], v[213:214]
	v_mul_f64 v[213:214], v[189:190], s[20:21]
	v_add_f64 v[159:160], v[201:202], v[187:188]
	v_mul_f64 v[187:188], v[135:136], s[26:27]
	v_add_f64 v[181:182], v[215:216], v[181:182]
	v_mul_f64 v[215:216], v[195:196], s[14:15]
	v_fma_f64 v[201:202], v[44:45], s[12:13], v[187:188]
	v_fma_f64 v[187:188], v[44:45], s[12:13], -v[187:188]
	v_add_f64 v[155:156], v[201:202], v[155:156]
	v_mul_f64 v[201:202], v[137:138], s[12:13]
	v_add_f64 v[151:152], v[187:188], v[151:152]
	v_fma_f64 v[203:204], v[46:47], s[28:29], v[201:202]
	v_fma_f64 v[187:188], v[46:47], s[26:27], v[201:202]
	;; [unrolled: 1-line block ×3, first 2 shown]
	v_add_f64 v[153:154], v[203:204], v[153:154]
	v_mul_f64 v[203:204], v[161:162], s[24:25]
	v_add_f64 v[149:150], v[187:188], v[149:150]
	v_fma_f64 v[205:206], v[117:118], s[6:7], v[203:204]
	v_fma_f64 v[187:188], v[117:118], s[6:7], -v[203:204]
	v_add_f64 v[155:156], v[205:206], v[155:156]
	v_mul_f64 v[205:206], v[163:164], s[6:7]
	v_add_f64 v[151:152], v[187:188], v[151:152]
	v_fma_f64 v[207:208], v[121:122], s[22:23], v[205:206]
	v_fma_f64 v[187:188], v[121:122], s[24:25], v[205:206]
	v_add_f64 v[153:154], v[207:208], v[153:154]
	v_mul_f64 v[207:208], v[183:184], s[18:19]
	v_add_f64 v[149:150], v[187:188], v[149:150]
	v_fma_f64 v[209:210], v[133:134], s[10:11], v[207:208]
	v_fma_f64 v[187:188], v[133:134], s[10:11], -v[207:208]
	v_add_f64 v[155:156], v[209:210], v[155:156]
	v_mul_f64 v[209:210], v[185:186], s[10:11]
	v_add_f64 v[151:152], v[187:188], v[151:152]
	v_fma_f64 v[187:188], v[145:146], s[18:19], v[209:210]
	v_fma_f64 v[211:212], v[145:146], s[30:31], v[209:210]
	v_add_f64 v[187:188], v[187:188], v[149:150]
	v_fma_f64 v[149:150], v[191:192], s[14:15], -v[213:214]
	v_add_f64 v[211:212], v[211:212], v[153:154]
	v_fma_f64 v[153:154], v[191:192], s[14:15], v[213:214]
	v_mul_f64 v[213:214], v[189:190], s[24:25]
	v_mul_f64 v[189:190], v[189:190], s[16:17]
	v_add_f64 v[149:150], v[149:150], v[151:152]
	v_add_f64 v[151:152], v[201:202], v[187:188]
	v_mul_f64 v[187:188], v[135:136], s[34:35]
	v_add_f64 v[153:154], v[153:154], v[155:156]
	v_fma_f64 v[155:156], v[197:198], s[36:37], v[215:216]
	v_mul_f64 v[215:216], v[195:196], s[6:7]
	v_mul_f64 v[135:136], v[135:136], s[30:31]
	;; [unrolled: 1-line block ×3, first 2 shown]
	v_fma_f64 v[60:61], v[191:192], s[6:7], -v[213:214]
	v_fma_f64 v[201:202], v[44:45], s[4:5], v[187:188]
	v_fma_f64 v[72:73], v[44:45], s[4:5], -v[187:188]
	v_add_f64 v[155:156], v[155:156], v[211:212]
	v_add_f64 v[141:142], v[201:202], v[141:142]
	v_mul_f64 v[201:202], v[137:138], s[4:5]
	v_mul_f64 v[137:138], v[137:138], s[10:11]
	v_add_f64 v[72:73], v[72:73], v[105:106]
	v_fma_f64 v[203:204], v[46:47], s[16:17], v[201:202]
	v_fma_f64 v[68:69], v[46:47], s[34:35], v[201:202]
	v_add_f64 v[139:140], v[203:204], v[139:140]
	v_mul_f64 v[203:204], v[161:162], s[18:19]
	v_mul_f64 v[161:162], v[161:162], s[20:21]
	v_add_f64 v[68:69], v[68:69], v[107:108]
	v_fma_f64 v[205:206], v[117:118], s[10:11], v[203:204]
	v_fma_f64 v[70:71], v[117:118], s[10:11], -v[203:204]
	v_add_f64 v[141:142], v[205:206], v[141:142]
	v_mul_f64 v[205:206], v[163:164], s[10:11]
	v_mul_f64 v[163:164], v[163:164], s[14:15]
	v_add_f64 v[70:71], v[70:71], v[72:73]
	v_fma_f64 v[72:73], v[197:198], s[24:25], v[215:216]
	v_fma_f64 v[207:208], v[121:122], s[30:31], v[205:206]
	;; [unrolled: 1-line block ×3, first 2 shown]
	v_add_f64 v[139:140], v[207:208], v[139:140]
	v_mul_f64 v[207:208], v[183:184], s[28:29]
	v_mul_f64 v[183:184], v[183:184], s[24:25]
	v_add_f64 v[68:69], v[76:77], v[68:69]
	v_fma_f64 v[209:210], v[133:134], s[12:13], v[207:208]
	v_fma_f64 v[64:65], v[133:134], s[12:13], -v[207:208]
	v_add_f64 v[141:142], v[209:210], v[141:142]
	v_mul_f64 v[209:210], v[185:186], s[12:13]
	v_mul_f64 v[185:186], v[185:186], s[6:7]
	v_add_f64 v[64:65], v[64:65], v[70:71]
	v_fma_f64 v[211:212], v[145:146], s[26:27], v[209:210]
	v_fma_f64 v[80:81], v[145:146], s[28:29], v[209:210]
	v_add_f64 v[211:212], v[211:212], v[139:140]
	v_fma_f64 v[139:140], v[191:192], s[6:7], v[213:214]
	v_add_f64 v[68:69], v[80:81], v[68:69]
	v_add_f64 v[139:140], v[139:140], v[141:142]
	v_fma_f64 v[141:142], v[197:198], s[22:23], v[215:216]
	v_add_f64 v[141:142], v[141:142], v[211:212]
	v_fma_f64 v[211:212], v[44:45], s[10:11], v[135:136]
	v_fma_f64 v[135:136], v[44:45], s[10:11], -v[135:136]
	v_fma_f64 v[44:45], v[44:45], s[6:7], -v[113:114]
	v_add_f64 v[131:132], v[211:212], v[131:132]
	v_fma_f64 v[211:212], v[46:47], s[18:19], v[137:138]
	v_add_f64 v[127:128], v[135:136], v[127:128]
	v_fma_f64 v[135:136], v[46:47], s[30:31], v[137:138]
	v_fma_f64 v[46:47], v[46:47], s[22:23], v[115:116]
	v_add_f64 v[44:45], v[44:45], v[86:87]
	v_fma_f64 v[137:138], v[197:198], s[16:17], v[195:196]
	v_add_f64 v[129:130], v[211:212], v[129:130]
	;; [unrolled: 2-line block ×3, first 2 shown]
	v_fma_f64 v[135:136], v[117:118], s[14:15], -v[161:162]
	v_add_f64 v[46:47], v[46:47], v[84:85]
	v_add_f64 v[44:45], v[74:75], v[44:45]
	v_fma_f64 v[74:75], v[197:198], s[28:29], v[199:200]
	v_add_f64 v[131:132], v[211:212], v[131:132]
	v_fma_f64 v[211:212], v[121:122], s[36:37], v[163:164]
	;; [unrolled: 2-line block ×3, first 2 shown]
	v_add_f64 v[46:47], v[78:79], v[46:47]
	v_add_f64 v[66:67], v[66:67], v[44:45]
	;; [unrolled: 1-line block ×4, first 2 shown]
	v_fma_f64 v[211:212], v[133:134], s[6:7], v[183:184]
	v_add_f64 v[125:126], v[135:136], v[125:126]
	v_fma_f64 v[135:136], v[133:134], s[6:7], -v[183:184]
	v_add_f64 v[58:59], v[82:83], v[46:47]
	v_add_f64 v[46:47], v[72:73], v[68:69]
	;; [unrolled: 1-line block ×4, first 2 shown]
	v_fma_f64 v[211:212], v[145:146], s[22:23], v[185:186]
	v_add_f64 v[127:128], v[135:136], v[127:128]
	v_fma_f64 v[135:136], v[145:146], s[24:25], v[185:186]
	v_add_f64 v[50:51], v[74:75], v[58:59]
	v_add_f64 v[211:212], v[211:212], v[129:130]
	v_fma_f64 v[129:130], v[191:192], s[4:5], v[189:190]
	v_add_f64 v[135:136], v[135:136], v[125:126]
	v_fma_f64 v[125:126], v[191:192], s[4:5], -v[189:190]
	v_add_f64 v[129:130], v[129:130], v[131:132]
	v_fma_f64 v[131:132], v[197:198], s[34:35], v[195:196]
	v_add_f64 v[125:126], v[125:126], v[127:128]
	v_add_f64 v[127:128], v[137:138], v[135:136]
	;; [unrolled: 1-line block ×3, first 2 shown]
	ds_write_b128 v165, v[175:178] offset:1344
	ds_write_b128 v165, v[179:182] offset:2688
	;; [unrolled: 1-line block ×9, first 2 shown]
	ds_write_b128 v165, v[52:55]
	ds_write_b128 v165, v[48:51] offset:13440
	s_and_saveexec_b32 s33, s1
	s_cbranch_execz .LBB0_23
; %bb.22:
	v_subrev_nc_u32_e32 v44, 40, v88
	v_mov_b32_e32 v45, 0
	v_cndmask_b32_e64 v44, v44, v95, s1
	v_mul_i32_i24_e32 v44, 10, v44
	v_lshlrev_b64 v[44:45], 4, v[44:45]
	v_add_co_u32 v44, s1, s8, v44
	v_add_co_ci_u32_e64 v45, s1, s9, v45, s1
	s_clause 0x9
	global_load_dwordx4 v[46:49], v[44:45], off offset:1376
	global_load_dwordx4 v[50:53], v[44:45], off offset:1392
	;; [unrolled: 1-line block ×10, first 2 shown]
	s_waitcnt vmcnt(9)
	v_mul_f64 v[44:45], v[26:27], v[48:49]
	s_waitcnt vmcnt(8)
	v_mul_f64 v[86:87], v[30:31], v[52:53]
	v_mul_f64 v[48:49], v[24:25], v[48:49]
	v_mul_f64 v[52:53], v[28:29], v[52:53]
	s_waitcnt vmcnt(7)
	v_mul_f64 v[105:106], v[22:23], v[56:57]
	s_waitcnt vmcnt(6)
	v_mul_f64 v[107:108], v[34:35], v[60:61]
	s_waitcnt vmcnt(5)
	v_mul_f64 v[109:110], v[10:11], v[64:65]
	s_waitcnt vmcnt(4)
	v_mul_f64 v[111:112], v[38:39], v[68:69]
	s_waitcnt vmcnt(3)
	v_mul_f64 v[113:114], v[18:19], v[72:73]
	s_waitcnt vmcnt(2)
	v_mul_f64 v[115:116], v[42:43], v[76:77]
	s_waitcnt vmcnt(1)
	v_mul_f64 v[117:118], v[14:15], v[80:81]
	s_waitcnt vmcnt(0)
	v_mul_f64 v[119:120], v[2:3], v[84:85]
	v_mul_f64 v[80:81], v[12:13], v[80:81]
	v_mul_f64 v[84:85], v[0:1], v[84:85]
	;; [unrolled: 1-line block ×8, first 2 shown]
	v_fma_f64 v[44:45], v[24:25], v[46:47], v[44:45]
	v_fma_f64 v[28:29], v[28:29], v[50:51], v[86:87]
	v_fma_f64 v[46:47], v[26:27], v[46:47], -v[48:49]
	v_fma_f64 v[30:31], v[30:31], v[50:51], -v[52:53]
	v_fma_f64 v[48:49], v[20:21], v[54:55], v[105:106]
	v_fma_f64 v[24:25], v[32:33], v[58:59], v[107:108]
	;; [unrolled: 1-line block ×8, first 2 shown]
	v_fma_f64 v[40:41], v[14:15], v[78:79], -v[80:81]
	v_fma_f64 v[2:3], v[2:3], v[82:83], -v[84:85]
	;; [unrolled: 1-line block ×8, first 2 shown]
	v_add_f64 v[34:35], v[44:45], -v[28:29]
	v_add_f64 v[82:83], v[44:45], v[28:29]
	v_add_f64 v[54:55], v[46:47], -v[30:31]
	v_add_f64 v[72:73], v[46:47], v[30:31]
	v_add_f64 v[38:39], v[48:49], -v[24:25]
	v_add_f64 v[42:43], v[26:27], -v[20:21]
	;; [unrolled: 1-line block ×4, first 2 shown]
	v_add_f64 v[84:85], v[36:37], v[0:1]
	v_add_f64 v[56:57], v[40:41], -v[2:3]
	v_add_f64 v[80:81], v[40:41], v[2:3]
	v_add_f64 v[74:75], v[22:23], v[14:15]
	v_add_f64 v[40:41], v[6:7], v[40:41]
	v_add_f64 v[76:77], v[16:17], v[12:13]
	v_add_f64 v[36:37], v[4:5], v[36:37]
	v_add_f64 v[78:79], v[18:19], v[10:11]
	v_mul_f64 v[58:59], v[34:35], s[16:17]
	v_mul_f64 v[107:108], v[34:35], s[24:25]
	;; [unrolled: 1-line block ×35, first 2 shown]
	v_add_f64 v[163:164], v[40:41], v[18:19]
	v_add_f64 v[175:176], v[36:37], v[32:33]
	v_fma_f64 v[34:35], v[72:73], s[4:5], v[58:59]
	v_fma_f64 v[177:178], v[76:77], s[14:15], v[64:65]
	;; [unrolled: 1-line block ×3, first 2 shown]
	v_fma_f64 v[36:37], v[82:83], s[4:5], -v[86:87]
	v_fma_f64 v[183:184], v[84:85], s[12:13], -v[105:106]
	;; [unrolled: 1-line block ×5, first 2 shown]
	v_fma_f64 v[40:41], v[82:83], s[4:5], v[86:87]
	v_fma_f64 v[86:87], v[84:85], s[12:13], v[105:106]
	;; [unrolled: 1-line block ×7, first 2 shown]
	v_fma_f64 v[50:51], v[82:83], s[6:7], -v[117:118]
	v_fma_f64 v[195:196], v[84:85], s[14:15], -v[119:120]
	;; [unrolled: 1-line block ×7, first 2 shown]
	v_fma_f64 v[58:59], v[82:83], s[6:7], v[117:118]
	v_fma_f64 v[115:116], v[84:85], s[14:15], v[119:120]
	;; [unrolled: 1-line block ×7, first 2 shown]
	v_fma_f64 v[201:202], v[84:85], s[4:5], -v[133:134]
	v_fma_f64 v[64:65], v[72:73], s[14:15], -v[121:122]
	;; [unrolled: 1-line block ×6, first 2 shown]
	v_fma_f64 v[129:130], v[84:85], s[4:5], v[133:134]
	v_fma_f64 v[133:134], v[80:81], s[6:7], v[143:144]
	v_fma_f64 v[203:204], v[84:85], s[6:7], -v[147:148]
	v_fma_f64 v[143:144], v[80:81], s[6:7], -v[143:144]
	v_fma_f64 v[147:148], v[84:85], s[6:7], v[147:148]
	v_fma_f64 v[205:206], v[80:81], s[10:11], v[157:158]
	v_fma_f64 v[207:208], v[84:85], s[10:11], -v[161:162]
	v_fma_f64 v[80:81], v[80:81], s[10:11], -v[157:158]
	v_fma_f64 v[84:85], v[84:85], s[10:11], v[161:162]
	v_fma_f64 v[60:61], v[74:75], s[6:7], v[62:63]
	;; [unrolled: 1-line block ×3, first 2 shown]
	v_fma_f64 v[68:69], v[74:75], s[6:7], -v[62:63]
	v_fma_f64 v[187:188], v[78:79], s[10:11], -v[66:67]
	;; [unrolled: 1-line block ×3, first 2 shown]
	v_fma_f64 v[66:67], v[82:83], s[14:15], v[131:132]
	v_fma_f64 v[62:63], v[72:73], s[10:11], v[135:136]
	;; [unrolled: 1-line block ×5, first 2 shown]
	v_add_f64 v[181:182], v[6:7], v[181:182]
	v_add_f64 v[183:184], v[4:5], v[183:184]
	;; [unrolled: 1-line block ×20, first 2 shown]
	v_fma_f64 v[80:81], v[82:83], s[10:11], -v[145:146]
	v_fma_f64 v[84:85], v[72:73], s[10:11], -v[135:136]
	;; [unrolled: 1-line block ×5, first 2 shown]
	v_fma_f64 v[141:142], v[82:83], s[10:11], v[145:146]
	v_fma_f64 v[145:146], v[72:73], s[12:13], v[149:150]
	v_fma_f64 v[72:73], v[72:73], s[12:13], -v[149:150]
	v_fma_f64 v[149:150], v[74:75], s[14:15], v[151:152]
	v_fma_f64 v[74:75], v[74:75], s[14:15], -v[151:152]
	;; [unrolled: 2-line block ×4, first 2 shown]
	v_fma_f64 v[155:156], v[82:83], s[12:13], -v[159:160]
	v_add_f64 v[163:164], v[163:164], v[16:17]
	v_fma_f64 v[82:83], v[82:83], s[12:13], v[159:160]
	v_add_f64 v[159:160], v[175:176], v[26:27]
	v_add_f64 v[175:176], v[22:23], -v[14:15]
	v_add_f64 v[18:19], v[18:19], -v[10:11]
	v_add_f64 v[32:33], v[32:33], v[8:9]
	v_add_f64 v[16:17], v[16:17], -v[12:13]
	v_add_f64 v[26:27], v[26:27], v[20:21]
	v_add_f64 v[111:112], v[111:112], v[113:114]
	;; [unrolled: 1-line block ×8, first 2 shown]
	v_mul_f64 v[159:160], v[175:176], s[24:25]
	v_mul_f64 v[209:210], v[175:176], s[28:29]
	;; [unrolled: 1-line block ×7, first 2 shown]
	v_add_f64 v[6:7], v[76:77], v[6:7]
	v_add_f64 v[22:23], v[22:23], v[46:47]
	v_mul_f64 v[46:47], v[18:19], s[30:31]
	v_add_f64 v[44:45], v[48:49], v[44:45]
	v_fma_f64 v[215:216], v[163:164], s[6:7], -v[159:160]
	v_fma_f64 v[159:160], v[163:164], s[6:7], v[159:160]
	v_fma_f64 v[217:218], v[163:164], s[12:13], -v[209:210]
	v_fma_f64 v[209:210], v[163:164], s[12:13], v[209:210]
	;; [unrolled: 2-line block ×5, first 2 shown]
	v_mul_f64 v[48:49], v[18:19], s[34:35]
	v_mul_f64 v[175:176], v[18:19], s[26:27]
	v_mul_f64 v[18:19], v[18:19], s[22:23]
	v_fma_f64 v[233:234], v[32:33], s[14:15], -v[225:226]
	v_fma_f64 v[225:226], v[32:33], s[14:15], v[225:226]
	v_fma_f64 v[245:246], v[26:27], s[12:13], -v[237:238]
	v_fma_f64 v[237:238], v[26:27], s[12:13], v[237:238]
	v_add_f64 v[22:23], v[22:23], v[30:31]
	v_fma_f64 v[227:228], v[32:33], s[10:11], -v[46:47]
	v_fma_f64 v[46:47], v[32:33], s[10:11], v[46:47]
	v_add_f64 v[28:29], v[44:45], v[28:29]
	v_mul_f64 v[30:31], v[16:17], s[20:21]
	v_mul_f64 v[44:45], v[16:17], s[24:25]
	v_fma_f64 v[229:230], v[32:33], s[4:5], -v[48:49]
	v_fma_f64 v[48:49], v[32:33], s[4:5], v[48:49]
	v_fma_f64 v[231:232], v[32:33], s[12:13], -v[175:176]
	v_fma_f64 v[175:176], v[32:33], s[12:13], v[175:176]
	;; [unrolled: 2-line block ×3, first 2 shown]
	v_mul_f64 v[32:33], v[16:17], s[18:19]
	v_mul_f64 v[16:17], v[16:17], s[16:17]
	v_add_f64 v[14:15], v[22:23], v[14:15]
	v_add_f64 v[46:47], v[46:47], v[86:87]
	;; [unrolled: 1-line block ×3, first 2 shown]
	v_fma_f64 v[239:240], v[26:27], s[14:15], -v[30:31]
	v_fma_f64 v[30:31], v[26:27], s[14:15], v[30:31]
	v_fma_f64 v[243:244], v[26:27], s[6:7], -v[44:45]
	v_fma_f64 v[44:45], v[26:27], s[6:7], v[44:45]
	v_add_f64 v[22:23], v[28:29], v[24:25]
	v_add_f64 v[48:49], v[48:49], v[115:116]
	;; [unrolled: 1-line block ×6, first 2 shown]
	v_fma_f64 v[241:242], v[26:27], s[10:11], -v[32:33]
	v_fma_f64 v[32:33], v[26:27], s[10:11], v[32:33]
	v_fma_f64 v[247:248], v[26:27], s[4:5], -v[16:17]
	v_fma_f64 v[16:17], v[26:27], s[4:5], v[16:17]
	v_add_f64 v[26:27], v[179:180], v[181:182]
	v_add_f64 v[179:180], v[227:228], v[183:184]
	;; [unrolled: 1-line block ×74, first 2 shown]
	ds_write_b128 v165, v[28:31] offset:2048
	ds_write_b128 v165, v[24:27] offset:3392
	ds_write_b128 v165, v[20:23] offset:4736
	ds_write_b128 v165, v[16:19] offset:6080
	ds_write_b128 v165, v[8:11] offset:7424
	ds_write_b128 v165, v[4:7] offset:8768
	ds_write_b128 v165, v[12:15] offset:10112
	ds_write_b128 v165, v[32:35] offset:11456
	ds_write_b128 v165, v[36:39] offset:12800
	ds_write_b128 v165, v[0:3] offset:704
	ds_write_b128 v165, v[40:43] offset:14144
.LBB0_23:
	s_or_b32 exec_lo, exec_lo, s33
	s_waitcnt lgkmcnt(0)
	s_barrier
	buffer_gl0_inv
	ds_read_b128 v[4:7], v165
	v_sub_nc_u32_e32 v10, 0, v89
	s_add_u32 s4, s8, 0x39a0
	s_addc_u32 s5, s9, 0
	s_mov_b32 s6, exec_lo
                                        ; implicit-def: $vgpr2_vgpr3
                                        ; implicit-def: $vgpr8_vgpr9
	v_cmpx_ne_u32_e32 0, v88
	s_xor_b32 s6, exec_lo, s6
	s_cbranch_execz .LBB0_25
; %bb.24:
	v_mov_b32_e32 v89, 0
	v_lshlrev_b64 v[0:1], 4, v[88:89]
	v_add_co_u32 v0, s1, s4, v0
	v_add_co_ci_u32_e64 v1, s1, s5, v1, s1
	global_load_dwordx4 v[11:14], v[0:1], off
	ds_read_b128 v[0:3], v10 offset:14784
	s_waitcnt lgkmcnt(0)
	v_add_f64 v[8:9], v[4:5], -v[0:1]
	v_add_f64 v[15:16], v[6:7], v[2:3]
	v_add_f64 v[2:3], v[6:7], -v[2:3]
	v_add_f64 v[0:1], v[4:5], v[0:1]
	v_mul_f64 v[6:7], v[8:9], 0.5
	v_mul_f64 v[4:5], v[15:16], 0.5
	;; [unrolled: 1-line block ×3, first 2 shown]
	s_waitcnt vmcnt(0)
	v_mul_f64 v[8:9], v[6:7], v[13:14]
	v_fma_f64 v[15:16], v[4:5], v[13:14], v[2:3]
	v_fma_f64 v[2:3], v[4:5], v[13:14], -v[2:3]
	v_fma_f64 v[17:18], v[0:1], 0.5, v[8:9]
	v_fma_f64 v[0:1], v[0:1], 0.5, -v[8:9]
	v_fma_f64 v[8:9], -v[11:12], v[6:7], v[15:16]
	v_fma_f64 v[2:3], -v[11:12], v[6:7], v[2:3]
	v_fma_f64 v[13:14], v[4:5], v[11:12], v[17:18]
	v_fma_f64 v[0:1], -v[4:5], v[11:12], v[0:1]
                                        ; implicit-def: $vgpr4_vgpr5
	ds_write_b64 v165, v[13:14]
.LBB0_25:
	s_or_saveexec_b32 s1, s6
	v_sub_nc_u32_e32 v11, 0, v96
	s_xor_b32 exec_lo, exec_lo, s1
	s_cbranch_execz .LBB0_27
; %bb.26:
	v_mov_b32_e32 v16, 0
	s_waitcnt lgkmcnt(0)
	v_add_f64 v[14:15], v[4:5], v[6:7]
	v_add_f64 v[0:1], v[4:5], -v[6:7]
	v_mov_b32_e32 v8, 0
	v_mov_b32_e32 v9, 0
	ds_read_b64 v[12:13], v16 offset:7400
	v_mov_b32_e32 v2, v8
	v_mov_b32_e32 v3, v9
	s_waitcnt lgkmcnt(0)
	v_xor_b32_e32 v13, 0x80000000, v13
	ds_write_b64 v165, v[14:15]
	ds_write_b64 v16, v[12:13] offset:7400
.LBB0_27:
	s_or_b32 exec_lo, exec_lo, s1
	v_mov_b32_e32 v96, 0
	ds_write_b64 v165, v[8:9] offset:8
	ds_write_b128 v10, v[0:3] offset:14784
	v_add_nc_u32_e32 v11, v166, v11
	s_waitcnt lgkmcnt(2)
	v_lshlrev_b64 v[4:5], 4, v[95:96]
	v_mov_b32_e32 v105, v96
	v_lshlrev_b64 v[12:13], 4, v[104:105]
	v_add_co_u32 v4, s1, s4, v4
	v_add_co_ci_u32_e64 v5, s1, s5, v5, s1
	v_mov_b32_e32 v104, v96
	v_add_co_u32 v12, s1, s4, v12
	global_load_dwordx4 v[4:7], v[4:5], off
	v_add_co_ci_u32_e64 v13, s1, s5, v13, s1
	v_lshlrev_b64 v[8:9], 4, v[103:104]
	v_mov_b32_e32 v103, v96
	global_load_dwordx4 v[12:15], v[12:13], off
	ds_read_b128 v[0:3], v170
	ds_read_b128 v[16:19], v10 offset:14080
	v_add_co_u32 v8, s1, s4, v8
	v_add_co_ci_u32_e64 v9, s1, s5, v9, s1
	global_load_dwordx4 v[20:23], v[8:9], off
	s_waitcnt lgkmcnt(0)
	v_add_f64 v[8:9], v[0:1], -v[16:17]
	v_add_f64 v[24:25], v[2:3], v[18:19]
	v_add_f64 v[2:3], v[2:3], -v[18:19]
	v_add_f64 v[0:1], v[0:1], v[16:17]
	v_mul_f64 v[8:9], v[8:9], 0.5
	v_mul_f64 v[18:19], v[24:25], 0.5
	;; [unrolled: 1-line block ×3, first 2 shown]
	s_waitcnt vmcnt(2)
	v_mul_f64 v[16:17], v[8:9], v[6:7]
	v_fma_f64 v[24:25], v[18:19], v[6:7], v[2:3]
	v_fma_f64 v[6:7], v[18:19], v[6:7], -v[2:3]
	v_fma_f64 v[26:27], v[0:1], 0.5, v[16:17]
	v_fma_f64 v[16:17], v[0:1], 0.5, -v[16:17]
	v_fma_f64 v[2:3], -v[4:5], v[8:9], v[24:25]
	v_fma_f64 v[6:7], -v[4:5], v[8:9], v[6:7]
	v_lshlrev_b64 v[8:9], 4, v[102:103]
	v_mov_b32_e32 v102, v96
	v_add_co_u32 v8, s1, s4, v8
	v_add_co_ci_u32_e64 v9, s1, s5, v9, s1
	v_fma_f64 v[0:1], v[18:19], v[4:5], v[26:27]
	v_fma_f64 v[4:5], -v[18:19], v[4:5], v[16:17]
	ds_write_b128 v170, v[0:3]
	ds_write_b128 v10, v[4:7] offset:14080
	ds_read_b128 v[0:3], v169
	ds_read_b128 v[4:7], v10 offset:13376
	global_load_dwordx4 v[16:19], v[8:9], off
	s_waitcnt lgkmcnt(0)
	v_add_f64 v[8:9], v[0:1], -v[4:5]
	v_add_f64 v[24:25], v[2:3], v[6:7]
	v_add_f64 v[2:3], v[2:3], -v[6:7]
	v_add_f64 v[0:1], v[0:1], v[4:5]
	v_mul_f64 v[6:7], v[8:9], 0.5
	v_mul_f64 v[8:9], v[24:25], 0.5
	v_mul_f64 v[2:3], v[2:3], 0.5
	s_waitcnt vmcnt(2)
	v_mul_f64 v[4:5], v[6:7], v[14:15]
	v_fma_f64 v[24:25], v[8:9], v[14:15], v[2:3]
	v_fma_f64 v[14:15], v[8:9], v[14:15], -v[2:3]
	v_fma_f64 v[26:27], v[0:1], 0.5, v[4:5]
	v_fma_f64 v[4:5], v[0:1], 0.5, -v[4:5]
	v_fma_f64 v[2:3], -v[12:13], v[6:7], v[24:25]
	v_fma_f64 v[6:7], -v[12:13], v[6:7], v[14:15]
	v_fma_f64 v[0:1], v[8:9], v[12:13], v[26:27]
	v_fma_f64 v[4:5], -v[8:9], v[12:13], v[4:5]
	v_lshlrev_b64 v[8:9], 4, v[101:102]
	v_mov_b32_e32 v101, v96
	ds_write_b128 v169, v[0:3]
	ds_write_b128 v10, v[4:7] offset:13376
	v_add_co_u32 v8, s1, s4, v8
	ds_read_b128 v[0:3], v168
	ds_read_b128 v[4:7], v10 offset:12672
	v_add_co_ci_u32_e64 v9, s1, s5, v9, s1
	global_load_dwordx4 v[12:15], v[8:9], off
	s_waitcnt lgkmcnt(0)
	v_add_f64 v[8:9], v[0:1], -v[4:5]
	v_add_f64 v[24:25], v[2:3], v[6:7]
	v_add_f64 v[2:3], v[2:3], -v[6:7]
	v_add_f64 v[0:1], v[0:1], v[4:5]
	v_mul_f64 v[6:7], v[8:9], 0.5
	v_mul_f64 v[8:9], v[24:25], 0.5
	v_mul_f64 v[2:3], v[2:3], 0.5
	s_waitcnt vmcnt(2)
	v_mul_f64 v[4:5], v[6:7], v[22:23]
	v_fma_f64 v[24:25], v[8:9], v[22:23], v[2:3]
	v_fma_f64 v[22:23], v[8:9], v[22:23], -v[2:3]
	v_fma_f64 v[26:27], v[0:1], 0.5, v[4:5]
	v_fma_f64 v[4:5], v[0:1], 0.5, -v[4:5]
	v_fma_f64 v[2:3], -v[20:21], v[6:7], v[24:25]
	v_fma_f64 v[6:7], -v[20:21], v[6:7], v[22:23]
	v_fma_f64 v[0:1], v[8:9], v[20:21], v[26:27]
	v_fma_f64 v[4:5], -v[8:9], v[20:21], v[4:5]
	v_lshlrev_b64 v[8:9], 4, v[100:101]
	v_mov_b32_e32 v100, v96
	ds_write_b128 v168, v[0:3]
	ds_write_b128 v10, v[4:7] offset:12672
	v_add_co_u32 v8, s1, s4, v8
	ds_read_b128 v[0:3], v167
	ds_read_b128 v[4:7], v10 offset:11968
	v_add_co_ci_u32_e64 v9, s1, s5, v9, s1
	;; [unrolled: 27-line block ×4, first 2 shown]
	global_load_dwordx4 v[12:15], v[8:9], off
	s_waitcnt lgkmcnt(0)
	v_add_f64 v[8:9], v[0:1], -v[4:5]
	v_add_f64 v[24:25], v[2:3], v[6:7]
	v_add_f64 v[2:3], v[2:3], -v[6:7]
	v_add_f64 v[0:1], v[0:1], v[4:5]
	v_mul_f64 v[6:7], v[8:9], 0.5
	v_mul_f64 v[8:9], v[24:25], 0.5
	;; [unrolled: 1-line block ×3, first 2 shown]
	s_waitcnt vmcnt(2)
	v_mul_f64 v[4:5], v[6:7], v[22:23]
	v_fma_f64 v[24:25], v[8:9], v[22:23], v[2:3]
	v_fma_f64 v[22:23], v[8:9], v[22:23], -v[2:3]
	v_fma_f64 v[26:27], v[0:1], 0.5, v[4:5]
	v_fma_f64 v[4:5], v[0:1], 0.5, -v[4:5]
	v_fma_f64 v[2:3], -v[20:21], v[6:7], v[24:25]
	v_fma_f64 v[6:7], -v[20:21], v[6:7], v[22:23]
	v_fma_f64 v[0:1], v[8:9], v[20:21], v[26:27]
	v_fma_f64 v[4:5], -v[8:9], v[20:21], v[4:5]
	v_lshlrev_b64 v[8:9], 4, v[97:98]
	ds_write_b128 v172, v[0:3]
	ds_write_b128 v10, v[4:7] offset:10560
	v_add_co_u32 v8, s1, s4, v8
	ds_read_b128 v[0:3], v171
	ds_read_b128 v[4:7], v10 offset:9856
	v_add_co_ci_u32_e64 v9, s1, s5, v9, s1
	global_load_dwordx4 v[20:23], v[8:9], off
	s_waitcnt lgkmcnt(0)
	v_add_f64 v[8:9], v[0:1], -v[4:5]
	v_add_f64 v[24:25], v[2:3], v[6:7]
	v_add_f64 v[2:3], v[2:3], -v[6:7]
	v_add_f64 v[0:1], v[0:1], v[4:5]
	v_mul_f64 v[6:7], v[8:9], 0.5
	v_mul_f64 v[8:9], v[24:25], 0.5
	;; [unrolled: 1-line block ×3, first 2 shown]
	s_waitcnt vmcnt(2)
	v_mul_f64 v[4:5], v[6:7], v[18:19]
	v_fma_f64 v[24:25], v[8:9], v[18:19], v[2:3]
	v_fma_f64 v[18:19], v[8:9], v[18:19], -v[2:3]
	v_fma_f64 v[26:27], v[0:1], 0.5, v[4:5]
	v_fma_f64 v[4:5], v[0:1], 0.5, -v[4:5]
	v_fma_f64 v[2:3], -v[16:17], v[6:7], v[24:25]
	v_fma_f64 v[6:7], -v[16:17], v[6:7], v[18:19]
	v_fma_f64 v[0:1], v[8:9], v[16:17], v[26:27]
	v_fma_f64 v[4:5], -v[8:9], v[16:17], v[4:5]
	ds_write_b128 v171, v[0:3]
	ds_write_b128 v10, v[4:7] offset:9856
	ds_read_b128 v[0:3], v11
	ds_read_b128 v[4:7], v10 offset:9152
	s_waitcnt lgkmcnt(0)
	v_add_f64 v[8:9], v[0:1], -v[4:5]
	v_add_f64 v[16:17], v[2:3], v[6:7]
	v_add_f64 v[2:3], v[2:3], -v[6:7]
	v_add_f64 v[0:1], v[0:1], v[4:5]
	v_mul_f64 v[6:7], v[8:9], 0.5
	v_mul_f64 v[8:9], v[16:17], 0.5
	v_mul_f64 v[2:3], v[2:3], 0.5
	s_waitcnt vmcnt(1)
	v_mul_f64 v[4:5], v[6:7], v[14:15]
	v_fma_f64 v[16:17], v[8:9], v[14:15], v[2:3]
	v_fma_f64 v[14:15], v[8:9], v[14:15], -v[2:3]
	v_fma_f64 v[18:19], v[0:1], 0.5, v[4:5]
	v_fma_f64 v[4:5], v[0:1], 0.5, -v[4:5]
	v_fma_f64 v[2:3], -v[12:13], v[6:7], v[16:17]
	v_fma_f64 v[6:7], -v[12:13], v[6:7], v[14:15]
	v_fma_f64 v[0:1], v[8:9], v[12:13], v[18:19]
	v_fma_f64 v[4:5], -v[8:9], v[12:13], v[4:5]
	ds_write_b128 v11, v[0:3]
	ds_write_b128 v10, v[4:7] offset:9152
	ds_read_b128 v[0:3], v174
	ds_read_b128 v[4:7], v10 offset:8448
	s_waitcnt lgkmcnt(0)
	v_add_f64 v[8:9], v[0:1], -v[4:5]
	v_add_f64 v[11:12], v[2:3], v[6:7]
	v_add_f64 v[2:3], v[2:3], -v[6:7]
	v_add_f64 v[0:1], v[0:1], v[4:5]
	v_mul_f64 v[6:7], v[8:9], 0.5
	v_mul_f64 v[8:9], v[11:12], 0.5
	;; [unrolled: 1-line block ×3, first 2 shown]
	s_waitcnt vmcnt(0)
	v_mul_f64 v[4:5], v[6:7], v[22:23]
	v_fma_f64 v[11:12], v[8:9], v[22:23], v[2:3]
	v_fma_f64 v[13:14], v[8:9], v[22:23], -v[2:3]
	v_fma_f64 v[15:16], v[0:1], 0.5, v[4:5]
	v_fma_f64 v[4:5], v[0:1], 0.5, -v[4:5]
	v_fma_f64 v[2:3], -v[20:21], v[6:7], v[11:12]
	v_fma_f64 v[6:7], -v[20:21], v[6:7], v[13:14]
	v_fma_f64 v[0:1], v[8:9], v[20:21], v[15:16]
	v_fma_f64 v[4:5], -v[8:9], v[20:21], v[4:5]
	ds_write_b128 v174, v[0:3]
	ds_write_b128 v10, v[4:7] offset:8448
	s_and_saveexec_b32 s1, s0
	s_cbranch_execz .LBB0_29
; %bb.28:
	v_mov_b32_e32 v95, v96
	v_lshlrev_b64 v[0:1], 4, v[94:95]
	v_add_co_u32 v0, s0, s4, v0
	v_add_co_ci_u32_e64 v1, s0, s5, v1, s0
	global_load_dwordx4 v[0:3], v[0:1], off
	ds_read_b128 v[4:7], v91
	ds_read_b128 v[11:14], v10 offset:7744
	s_waitcnt lgkmcnt(0)
	v_add_f64 v[8:9], v[4:5], -v[11:12]
	v_add_f64 v[15:16], v[6:7], v[13:14]
	v_add_f64 v[6:7], v[6:7], -v[13:14]
	v_add_f64 v[4:5], v[4:5], v[11:12]
	v_mul_f64 v[8:9], v[8:9], 0.5
	v_mul_f64 v[13:14], v[15:16], 0.5
	;; [unrolled: 1-line block ×3, first 2 shown]
	s_waitcnt vmcnt(0)
	v_mul_f64 v[11:12], v[8:9], v[2:3]
	v_fma_f64 v[15:16], v[13:14], v[2:3], v[6:7]
	v_fma_f64 v[2:3], v[13:14], v[2:3], -v[6:7]
	v_fma_f64 v[6:7], v[4:5], 0.5, v[11:12]
	v_fma_f64 v[11:12], v[4:5], 0.5, -v[11:12]
	v_fma_f64 v[4:5], -v[0:1], v[8:9], v[15:16]
	v_fma_f64 v[8:9], -v[0:1], v[8:9], v[2:3]
	v_fma_f64 v[2:3], v[13:14], v[0:1], v[6:7]
	v_fma_f64 v[6:7], -v[13:14], v[0:1], v[11:12]
	ds_write_b128 v91, v[2:5]
	ds_write_b128 v10, v[6:9] offset:7744
.LBB0_29:
	s_or_b32 exec_lo, exec_lo, s1
	s_waitcnt lgkmcnt(0)
	s_barrier
	buffer_gl0_inv
	s_and_saveexec_b32 s0, vcc_lo
	s_cbranch_execz .LBB0_32
; %bb.30:
	v_mov_b32_e32 v89, 0
	ds_read_b128 v[2:5], v165
	ds_read_b128 v[6:9], v165 offset:704
	ds_read_b128 v[10:13], v165 offset:1408
	;; [unrolled: 1-line block ×3, first 2 shown]
	v_add_co_u32 v0, vcc_lo, s2, v92
	v_lshlrev_b64 v[18:19], 4, v[88:89]
	v_add_co_ci_u32_e32 v1, vcc_lo, s3, v93, vcc_lo
	v_mov_b32_e32 v91, v89
	v_add_co_u32 v46, vcc_lo, v0, v18
	v_add_co_ci_u32_e32 v47, vcc_lo, v1, v19, vcc_lo
	ds_read_b128 v[18:21], v165 offset:2816
	ds_read_b128 v[22:25], v165 offset:3520
	;; [unrolled: 1-line block ×4, first 2 shown]
	v_add_co_u32 v48, vcc_lo, 0x800, v46
	v_add_co_ci_u32_e32 v49, vcc_lo, 0, v47, vcc_lo
	s_waitcnt lgkmcnt(7)
	global_store_dwordx4 v[46:47], v[2:5], off
	s_waitcnt lgkmcnt(6)
	global_store_dwordx4 v[46:47], v[6:9], off offset:704
	s_waitcnt lgkmcnt(5)
	global_store_dwordx4 v[46:47], v[10:13], off offset:1408
	ds_read_b128 v[2:5], v165 offset:5632
	ds_read_b128 v[6:9], v165 offset:6336
	;; [unrolled: 1-line block ×6, first 2 shown]
	s_waitcnt lgkmcnt(10)
	global_store_dwordx4 v[48:49], v[14:17], off offset:64
	ds_read_b128 v[14:17], v165 offset:9856
	v_add_co_u32 v50, vcc_lo, 0x1000, v46
	v_add_co_ci_u32_e32 v51, vcc_lo, 0, v47, vcc_lo
	s_waitcnt lgkmcnt(10)
	global_store_dwordx4 v[48:49], v[18:21], off offset:768
	s_waitcnt lgkmcnt(9)
	global_store_dwordx4 v[48:49], v[22:25], off offset:1472
	;; [unrolled: 2-line block ×4, first 2 shown]
	v_add_co_u32 v18, vcc_lo, 0x1800, v46
	v_add_co_ci_u32_e32 v19, vcc_lo, 0, v47, vcc_lo
	v_add_co_u32 v20, vcc_lo, 0x2000, v46
	v_add_co_ci_u32_e32 v21, vcc_lo, 0, v47, vcc_lo
	s_waitcnt lgkmcnt(6)
	global_store_dwordx4 v[50:51], v[2:5], off offset:1536
	s_waitcnt lgkmcnt(5)
	global_store_dwordx4 v[18:19], v[6:9], off offset:192
	;; [unrolled: 2-line block ×6, first 2 shown]
	ds_read_b128 v[2:5], v165 offset:10560
	ds_read_b128 v[6:9], v165 offset:11264
	s_waitcnt lgkmcnt(2)
	global_store_dwordx4 v[20:21], v[14:17], off offset:1664
	ds_read_b128 v[10:13], v165 offset:11968
	ds_read_b128 v[14:17], v165 offset:12672
	;; [unrolled: 1-line block ×4, first 2 shown]
	v_lshlrev_b64 v[26:27], 4, v[90:91]
	v_add_co_u32 v28, vcc_lo, 0x2800, v46
	v_add_co_ci_u32_e32 v29, vcc_lo, 0, v47, vcc_lo
	v_add_co_u32 v26, vcc_lo, v0, v26
	v_add_co_ci_u32_e32 v27, vcc_lo, v1, v27, vcc_lo
	;; [unrolled: 2-line block ×3, first 2 shown]
	v_cmp_eq_u32_e32 vcc_lo, 43, v88
	s_waitcnt lgkmcnt(5)
	global_store_dwordx4 v[28:29], v[2:5], off offset:320
	s_waitcnt lgkmcnt(4)
	global_store_dwordx4 v[26:27], v[6:9], off
	s_waitcnt lgkmcnt(3)
	global_store_dwordx4 v[28:29], v[10:13], off offset:1728
	s_waitcnt lgkmcnt(2)
	global_store_dwordx4 v[30:31], v[14:17], off offset:384
	;; [unrolled: 2-line block ×4, first 2 shown]
	s_and_b32 exec_lo, exec_lo, vcc_lo
	s_cbranch_execz .LBB0_32
; %bb.31:
	ds_read_b128 v[2:5], v89 offset:14784
	v_add_co_u32 v0, vcc_lo, 0x3800, v0
	v_add_co_ci_u32_e32 v1, vcc_lo, 0, v1, vcc_lo
	s_waitcnt lgkmcnt(0)
	global_store_dwordx4 v[0:1], v[2:5], off offset:448
.LBB0_32:
	s_endpgm
	.section	.rodata,"a",@progbits
	.p2align	6, 0x0
	.amdhsa_kernel fft_rtc_back_len924_factors_2_2_3_7_11_wgs_44_tpt_44_halfLds_dp_ip_CI_unitstride_sbrr_R2C_dirReg
		.amdhsa_group_segment_fixed_size 0
		.amdhsa_private_segment_fixed_size 0
		.amdhsa_kernarg_size 88
		.amdhsa_user_sgpr_count 6
		.amdhsa_user_sgpr_private_segment_buffer 1
		.amdhsa_user_sgpr_dispatch_ptr 0
		.amdhsa_user_sgpr_queue_ptr 0
		.amdhsa_user_sgpr_kernarg_segment_ptr 1
		.amdhsa_user_sgpr_dispatch_id 0
		.amdhsa_user_sgpr_flat_scratch_init 0
		.amdhsa_user_sgpr_private_segment_size 0
		.amdhsa_wavefront_size32 1
		.amdhsa_uses_dynamic_stack 0
		.amdhsa_system_sgpr_private_segment_wavefront_offset 0
		.amdhsa_system_sgpr_workgroup_id_x 1
		.amdhsa_system_sgpr_workgroup_id_y 0
		.amdhsa_system_sgpr_workgroup_id_z 0
		.amdhsa_system_sgpr_workgroup_info 0
		.amdhsa_system_vgpr_workitem_id 0
		.amdhsa_next_free_vgpr 249
		.amdhsa_next_free_sgpr 38
		.amdhsa_reserve_vcc 1
		.amdhsa_reserve_flat_scratch 0
		.amdhsa_float_round_mode_32 0
		.amdhsa_float_round_mode_16_64 0
		.amdhsa_float_denorm_mode_32 3
		.amdhsa_float_denorm_mode_16_64 3
		.amdhsa_dx10_clamp 1
		.amdhsa_ieee_mode 1
		.amdhsa_fp16_overflow 0
		.amdhsa_workgroup_processor_mode 1
		.amdhsa_memory_ordered 1
		.amdhsa_forward_progress 0
		.amdhsa_shared_vgpr_count 0
		.amdhsa_exception_fp_ieee_invalid_op 0
		.amdhsa_exception_fp_denorm_src 0
		.amdhsa_exception_fp_ieee_div_zero 0
		.amdhsa_exception_fp_ieee_overflow 0
		.amdhsa_exception_fp_ieee_underflow 0
		.amdhsa_exception_fp_ieee_inexact 0
		.amdhsa_exception_int_div_zero 0
	.end_amdhsa_kernel
	.text
.Lfunc_end0:
	.size	fft_rtc_back_len924_factors_2_2_3_7_11_wgs_44_tpt_44_halfLds_dp_ip_CI_unitstride_sbrr_R2C_dirReg, .Lfunc_end0-fft_rtc_back_len924_factors_2_2_3_7_11_wgs_44_tpt_44_halfLds_dp_ip_CI_unitstride_sbrr_R2C_dirReg
                                        ; -- End function
	.section	.AMDGPU.csdata,"",@progbits
; Kernel info:
; codeLenInByte = 18864
; NumSgprs: 40
; NumVgprs: 249
; ScratchSize: 0
; MemoryBound: 0
; FloatMode: 240
; IeeeMode: 1
; LDSByteSize: 0 bytes/workgroup (compile time only)
; SGPRBlocks: 4
; VGPRBlocks: 31
; NumSGPRsForWavesPerEU: 40
; NumVGPRsForWavesPerEU: 249
; Occupancy: 4
; WaveLimiterHint : 1
; COMPUTE_PGM_RSRC2:SCRATCH_EN: 0
; COMPUTE_PGM_RSRC2:USER_SGPR: 6
; COMPUTE_PGM_RSRC2:TRAP_HANDLER: 0
; COMPUTE_PGM_RSRC2:TGID_X_EN: 1
; COMPUTE_PGM_RSRC2:TGID_Y_EN: 0
; COMPUTE_PGM_RSRC2:TGID_Z_EN: 0
; COMPUTE_PGM_RSRC2:TIDIG_COMP_CNT: 0
	.text
	.p2alignl 6, 3214868480
	.fill 48, 4, 3214868480
	.type	__hip_cuid_d40e23760c2b9980,@object ; @__hip_cuid_d40e23760c2b9980
	.section	.bss,"aw",@nobits
	.globl	__hip_cuid_d40e23760c2b9980
__hip_cuid_d40e23760c2b9980:
	.byte	0                               ; 0x0
	.size	__hip_cuid_d40e23760c2b9980, 1

	.ident	"AMD clang version 19.0.0git (https://github.com/RadeonOpenCompute/llvm-project roc-6.4.0 25133 c7fe45cf4b819c5991fe208aaa96edf142730f1d)"
	.section	".note.GNU-stack","",@progbits
	.addrsig
	.addrsig_sym __hip_cuid_d40e23760c2b9980
	.amdgpu_metadata
---
amdhsa.kernels:
  - .args:
      - .actual_access:  read_only
        .address_space:  global
        .offset:         0
        .size:           8
        .value_kind:     global_buffer
      - .offset:         8
        .size:           8
        .value_kind:     by_value
      - .actual_access:  read_only
        .address_space:  global
        .offset:         16
        .size:           8
        .value_kind:     global_buffer
      - .actual_access:  read_only
        .address_space:  global
        .offset:         24
        .size:           8
        .value_kind:     global_buffer
      - .offset:         32
        .size:           8
        .value_kind:     by_value
      - .actual_access:  read_only
        .address_space:  global
        .offset:         40
        .size:           8
        .value_kind:     global_buffer
      - .actual_access:  read_only
        .address_space:  global
        .offset:         48
        .size:           8
        .value_kind:     global_buffer
      - .offset:         56
        .size:           4
        .value_kind:     by_value
      - .actual_access:  read_only
        .address_space:  global
        .offset:         64
        .size:           8
        .value_kind:     global_buffer
      - .actual_access:  read_only
        .address_space:  global
        .offset:         72
        .size:           8
        .value_kind:     global_buffer
      - .address_space:  global
        .offset:         80
        .size:           8
        .value_kind:     global_buffer
    .group_segment_fixed_size: 0
    .kernarg_segment_align: 8
    .kernarg_segment_size: 88
    .language:       OpenCL C
    .language_version:
      - 2
      - 0
    .max_flat_workgroup_size: 44
    .name:           fft_rtc_back_len924_factors_2_2_3_7_11_wgs_44_tpt_44_halfLds_dp_ip_CI_unitstride_sbrr_R2C_dirReg
    .private_segment_fixed_size: 0
    .sgpr_count:     40
    .sgpr_spill_count: 0
    .symbol:         fft_rtc_back_len924_factors_2_2_3_7_11_wgs_44_tpt_44_halfLds_dp_ip_CI_unitstride_sbrr_R2C_dirReg.kd
    .uniform_work_group_size: 1
    .uses_dynamic_stack: false
    .vgpr_count:     249
    .vgpr_spill_count: 0
    .wavefront_size: 32
    .workgroup_processor_mode: 1
amdhsa.target:   amdgcn-amd-amdhsa--gfx1030
amdhsa.version:
  - 1
  - 2
...

	.end_amdgpu_metadata
